;; amdgpu-corpus repo=ROCm/rocFFT kind=compiled arch=gfx950 opt=O3
	.text
	.amdgcn_target "amdgcn-amd-amdhsa--gfx950"
	.amdhsa_code_object_version 6
	.protected	bluestein_single_fwd_len4050_dim1_dp_op_CI_CI ; -- Begin function bluestein_single_fwd_len4050_dim1_dp_op_CI_CI
	.globl	bluestein_single_fwd_len4050_dim1_dp_op_CI_CI
	.p2align	8
	.type	bluestein_single_fwd_len4050_dim1_dp_op_CI_CI,@function
bluestein_single_fwd_len4050_dim1_dp_op_CI_CI: ; @bluestein_single_fwd_len4050_dim1_dp_op_CI_CI
; %bb.0:
	s_load_dwordx4 s[12:15], s[0:1], 0x28
	v_mul_u32_u24_e32 v1, 0x1e6, v0
	v_add_u32_sdwa v220, s2, v1 dst_sel:DWORD dst_unused:UNUSED_PAD src0_sel:DWORD src1_sel:WORD_1
	v_mov_b32_e32 v221, 0
	s_waitcnt lgkmcnt(0)
	v_cmp_gt_u64_e32 vcc, s[12:13], v[220:221]
	s_and_saveexec_b64 s[2:3], vcc
	s_cbranch_execz .LBB0_2
; %bb.1:
	s_load_dwordx4 s[4:7], s[0:1], 0x0
	s_load_dwordx4 s[8:11], s[0:1], 0x18
	s_load_dwordx2 s[2:3], s[0:1], 0x38
	s_movk_i32 s0, 0x87
	v_mul_lo_u16_sdwa v1, v1, s0 dst_sel:DWORD dst_unused:UNUSED_PAD src0_sel:WORD_1 src1_sel:DWORD
	s_mov_b32 s0, 0
	v_mov_b32_e32 v225, s0
	s_waitcnt lgkmcnt(0)
	v_mov_b32_e32 v4, s2
	v_mov_b32_e32 v5, s3
	s_load_dwordx4 s[0:3], s[10:11], 0x0
	scratch_store_dwordx2 off, v[4:5], off offset:848 ; 8-byte Folded Spill
	v_sub_u16_e32 v224, v0, v1
	v_mov_b32_e32 v2, s14
	v_mov_b32_e32 v3, s15
	s_waitcnt lgkmcnt(0)
	v_mad_u64_u32 v[4:5], s[10:11], s2, v220, 0
	s_load_dwordx4 s[8:11], s[8:9], 0x0
	v_mov_b32_e32 v0, v5
	v_mad_u64_u32 v[0:1], s[2:3], s3, v220, v[0:1]
	v_mov_b32_e32 v5, v0
	s_waitcnt lgkmcnt(0)
	v_mad_u64_u32 v[0:1], s[2:3], s10, v220, 0
	scratch_store_dwordx2 off, v[4:5], off offset:904 ; 8-byte Folded Spill
	v_mov_b32_e32 v4, v1
	v_mad_u64_u32 v[4:5], s[2:3], s11, v220, v[4:5]
	v_mov_b32_e32 v1, v4
	v_mad_u64_u32 v[4:5], s[2:3], s8, v224, 0
	;; [unrolled: 2-line block ×3, first 2 shown]
	v_mov_b32_e32 v5, v6
	v_lshl_add_u64 v[0:1], v[0:1], 4, v[2:3]
	v_lshl_add_u64 v[8:9], v[4:5], 4, v[0:1]
	v_lshlrev_b32_e32 v220, 4, v224
	global_load_dwordx4 v[0:3], v[8:9], off
	global_load_dwordx4 v[10:13], v220, s[4:5]
	s_mov_b64 s[2:3], 0x195
	v_mov_b32_e32 v132, 0x1950
	v_lshl_add_u64 v[126:127], s[4:5], 0, v[220:221]
	v_lshl_add_u64 v[134:135], v[224:225], 0, s[2:3]
	v_mad_u64_u32 v[8:9], s[2:3], s8, v132, v[8:9]
	s_movk_i32 s27, 0x1000
	s_mul_i32 s2, s9, 0x1950
	v_add_u32_e32 v9, s2, v9
	s_mov_b64 s[10:11], 0x32a
	s_movk_i32 s28, 0x3000
	v_lshl_add_u64 v[218:219], v[224:225], 0, s[10:11]
	s_movk_i32 s3, 0x4000
                                        ; kill: killed $sgpr4_sgpr5
	s_movk_i32 s29, 0x2000
	s_movk_i32 s26, 0x5000
	v_mov_b32_e32 v30, 0xffff24a0
	s_mov_b32 s15, 0xbfee6f0e
	s_mov_b32 s12, 0x372fe950
	;; [unrolled: 1-line block ×10, first 2 shown]
	s_movk_i32 s24, 0x96
	s_movk_i32 s30, 0x1c2
	;; [unrolled: 1-line block ×3, first 2 shown]
	s_mov_b32 s35, -1
	s_waitcnt vmcnt(0)
	scratch_store_dwordx4 off, v[10:13], off offset:20 ; 16-byte Folded Spill
	v_mul_f64 v[4:5], v[2:3], v[12:13]
	v_fmac_f64_e32 v[4:5], v[0:1], v[10:11]
	v_mul_f64 v[0:1], v[0:1], v[12:13]
	v_fma_f64 v[6:7], v[2:3], v[10:11], -v[0:1]
	v_add_co_u32_e32 v10, vcc, s27, v126
	global_load_dwordx4 v[0:3], v[8:9], off
	s_nop 0
	v_addc_co_u32_e32 v11, vcc, 0, v127, vcc
	global_load_dwordx4 v[12:15], v[10:11], off offset:2384
	ds_write_b128 v220, v[4:7]
	s_waitcnt vmcnt(0)
	v_mul_f64 v[4:5], v[2:3], v[14:15]
	v_fmac_f64_e32 v[4:5], v[0:1], v[12:13]
	v_mul_f64 v[0:1], v[0:1], v[14:15]
	scratch_store_dwordx4 off, v[12:15], off offset:68 ; 16-byte Folded Spill
	v_fma_f64 v[6:7], v[2:3], v[12:13], -v[0:1]
	v_add_co_u32_e32 v0, vcc, s28, v126
	v_mad_u64_u32 v[12:13], s[10:11], s8, v132, v[8:9]
	v_add_u32_e32 v13, s2, v13
	v_addc_co_u32_e32 v1, vcc, 0, v127, vcc
	ds_write_b128 v220, v[4:7] offset:6480
	global_load_dwordx4 v[2:5], v[12:13], off
	global_load_dwordx4 v[14:17], v[0:1], off offset:672
	s_mov_b64 s[10:11], 0x4bf
	v_lshl_add_u64 v[130:131], v[224:225], 0, s[10:11]
                                        ; kill: killed $vgpr0 killed $vgpr1
	s_waitcnt vmcnt(0)
	v_mul_f64 v[6:7], v[4:5], v[16:17]
	v_fmac_f64_e32 v[6:7], v[2:3], v[14:15]
	v_mul_f64 v[2:3], v[2:3], v[16:17]
	v_fma_f64 v[8:9], v[4:5], v[14:15], -v[2:3]
	ds_write_b128 v220, v[6:9] offset:12960
	v_mad_u64_u32 v[6:7], s[10:11], s8, v132, v[12:13]
	v_add_co_u32_e32 v8, vcc, s3, v126
	v_add_u32_e32 v7, s2, v7
	s_nop 0
	v_addc_co_u32_e32 v9, vcc, 0, v127, vcc
	scratch_store_dwordx4 off, v[14:17], off offset:132 ; 16-byte Folded Spill
	global_load_dwordx4 v[2:5], v[6:7], off
	s_movk_i32 s3, 0x6000
	global_load_dwordx4 v[14:17], v[8:9], off offset:3056
	s_waitcnt vmcnt(0)
	v_mul_f64 v[12:13], v[4:5], v[16:17]
	v_fmac_f64_e32 v[12:13], v[2:3], v[14:15]
	v_mul_f64 v[2:3], v[2:3], v[16:17]
	scratch_store_dwordx4 off, v[14:17], off offset:364 ; 16-byte Folded Spill
	s_nop 1
	v_fma_f64 v[14:15], v[4:5], v[14:15], -v[2:3]
	v_mad_u64_u32 v[16:17], s[10:11], s8, v132, v[6:7]
	v_add_co_u32_e32 v2, vcc, s3, v126
	v_add_u32_e32 v17, s2, v17
	s_nop 0
	v_addc_co_u32_e32 v3, vcc, 0, v127, vcc
	global_load_dwordx4 v[18:21], v[2:3], off offset:1344
	global_load_dwordx4 v[4:7], v[16:17], off
	ds_write_b128 v220, v[12:15] offset:19440
	s_movk_i32 s3, 0x7000
                                        ; kill: killed $vgpr2 killed $vgpr3
	s_waitcnt vmcnt(1)
	scratch_store_dwordx4 off, v[18:21], off offset:396 ; 16-byte Folded Spill
	s_waitcnt vmcnt(1)
	v_mul_f64 v[12:13], v[6:7], v[20:21]
	v_fmac_f64_e32 v[12:13], v[4:5], v[18:19]
	v_mul_f64 v[4:5], v[4:5], v[20:21]
	v_fma_f64 v[14:15], v[6:7], v[18:19], -v[4:5]
	v_mad_u64_u32 v[4:5], s[10:11], s8, v132, v[16:17]
	v_add_co_u32_e32 v6, vcc, s3, v126
	v_add_u32_e32 v5, s2, v5
	s_nop 0
	v_addc_co_u32_e32 v7, vcc, 0, v127, vcc
	ds_write_b128 v220, v[12:15] offset:25920
	global_load_dwordx4 v[12:15], v[4:5], off
	global_load_dwordx4 v[18:21], v[6:7], off offset:3728
	s_mov_b32 s3, 0x9000
	v_mad_u64_u32 v[4:5], s[10:11], s8, v132, v[4:5]
	v_add_u32_e32 v5, s2, v5
	s_waitcnt vmcnt(0)
	v_mul_f64 v[16:17], v[14:15], v[20:21]
	v_fmac_f64_e32 v[16:17], v[12:13], v[18:19]
	v_mul_f64 v[12:13], v[12:13], v[20:21]
	scratch_store_dwordx4 off, v[18:21], off offset:428 ; 16-byte Folded Spill
	s_nop 1
	v_fma_f64 v[18:19], v[14:15], v[18:19], -v[12:13]
	ds_write_b128 v220, v[16:19] offset:32400
	v_add_co_u32_e32 v16, vcc, s3, v126
	global_load_dwordx4 v[12:15], v[4:5], off
	s_nop 0
	v_addc_co_u32_e32 v17, vcc, 0, v127, vcc
	global_load_dwordx4 v[18:21], v[16:17], off offset:2016
	s_mov_b32 s3, 0xb000
	v_mad_u64_u32 v[4:5], s[10:11], s8, v132, v[4:5]
	v_add_u32_e32 v5, s2, v5
	s_waitcnt vmcnt(0)
	v_mul_f64 v[16:17], v[14:15], v[20:21]
	v_fmac_f64_e32 v[16:17], v[12:13], v[18:19]
	v_mul_f64 v[12:13], v[12:13], v[20:21]
	scratch_store_dwordx4 off, v[18:21], off offset:460 ; 16-byte Folded Spill
	s_nop 1
	v_fma_f64 v[18:19], v[14:15], v[18:19], -v[12:13]
	v_add_co_u32_e32 v12, vcc, s3, v126
	ds_write_b128 v220, v[16:19] offset:38880
	s_nop 0
	v_addc_co_u32_e32 v13, vcc, 0, v127, vcc
	global_load_dwordx4 v[14:17], v[4:5], off
	global_load_dwordx4 v[20:23], v[12:13], off offset:304
	s_mov_b32 s3, 0xc000
                                        ; kill: killed $vgpr12 killed $vgpr13
	s_waitcnt vmcnt(0)
	v_mul_f64 v[18:19], v[16:17], v[22:23]
	scratch_store_dwordx4 off, v[20:23], off offset:492 ; 16-byte Folded Spill
	v_fmac_f64_e32 v[18:19], v[14:15], v[20:21]
	v_mul_f64 v[14:15], v[14:15], v[22:23]
	v_mad_u64_u32 v[22:23], s[10:11], s8, v132, v[4:5]
	v_add_co_u32_e32 v4, vcc, s3, v126
	v_add_u32_e32 v23, s2, v23
	s_nop 0
	v_addc_co_u32_e32 v5, vcc, 0, v127, vcc
	v_fma_f64 v[20:21], v[16:17], v[20:21], -v[14:15]
	global_load_dwordx4 v[14:17], v[22:23], off
	global_load_dwordx4 v[24:27], v[4:5], off offset:2688
	ds_write_b128 v220, v[18:21] offset:45360
	s_mov_b32 s3, 0xe000
	s_waitcnt vmcnt(0)
	v_mul_f64 v[18:19], v[16:17], v[26:27]
	v_fmac_f64_e32 v[18:19], v[14:15], v[24:25]
	v_mul_f64 v[14:15], v[14:15], v[26:27]
	scratch_store_dwordx4 off, v[24:27], off offset:508 ; 16-byte Folded Spill
	v_fma_f64 v[20:21], v[16:17], v[24:25], -v[14:15]
	ds_write_b128 v220, v[18:21] offset:51840
	v_mad_u64_u32 v[24:25], s[10:11], s8, v132, v[22:23]
	v_add_co_u32_e32 v22, vcc, s3, v126
	v_add_u32_e32 v25, s2, v25
	s_nop 0
	v_addc_co_u32_e32 v23, vcc, 0, v127, vcc
	global_load_dwordx4 v[14:17], v[24:25], off
	global_load_dwordx4 v[26:29], v[22:23], off offset:976
	s_mov_b64 s[10:11], 0x87
	s_mul_i32 s3, s9, 0xffff24a0
	v_lshl_add_u64 v[144:145], v[224:225], 0, s[10:11]
	s_sub_i32 s3, s3, s8
                                        ; kill: killed $vgpr22 killed $vgpr23
	s_waitcnt vmcnt(0)
	v_mul_f64 v[18:19], v[16:17], v[28:29]
	v_fmac_f64_e32 v[18:19], v[14:15], v[26:27]
	v_mul_f64 v[14:15], v[14:15], v[28:29]
	v_fma_f64 v[20:21], v[16:17], v[26:27], -v[14:15]
	v_mov_b32_e32 v14, 0xffff24a0
	v_mad_u64_u32 v[24:25], s[10:11], s8, v14, v[24:25]
	scratch_store_dwordx4 off, v[26:29], off offset:524 ; 16-byte Folded Spill
	ds_write_b128 v220, v[18:21] offset:58320
	v_add_u32_e32 v25, s3, v25
	global_load_dwordx4 v[14:17], v[24:25], off
	global_load_dwordx4 v[26:29], v220, s[4:5] offset:2160
	s_mov_b64 s[4:5], 0x21c
	v_lshl_add_u64 v[138:139], v[224:225], 0, s[4:5]
	s_mov_b32 s10, 0x4755a5e
	s_mov_b32 s11, 0x3fe2cf23
	;; [unrolled: 1-line block ×3, first 2 shown]
	s_waitcnt vmcnt(0)
	v_mul_f64 v[18:19], v[16:17], v[28:29]
	v_fmac_f64_e32 v[18:19], v[14:15], v[26:27]
	v_mul_f64 v[14:15], v[14:15], v[28:29]
	v_fma_f64 v[20:21], v[16:17], v[26:27], -v[14:15]
	ds_write_b128 v220, v[18:21] offset:2160
	v_mad_u64_u32 v[18:19], s[4:5], s8, v132, v[24:25]
	v_add_co_u32_e32 v20, vcc, s29, v126
	v_add_u32_e32 v19, s2, v19
	s_nop 0
	v_addc_co_u32_e32 v21, vcc, 0, v127, vcc
	scratch_store_dwordx4 off, v[26:29], off offset:36 ; 16-byte Folded Spill
	global_load_dwordx4 v[14:17], v[18:19], off
	s_mov_b64 s[4:5], 0x3b1
	global_load_dwordx4 v[26:29], v[20:21], off offset:448
	v_lshl_add_u64 v[136:137], v[224:225], 0, s[4:5]
	v_mad_u64_u32 v[18:19], s[4:5], s8, v132, v[18:19]
	v_add_u32_e32 v19, s2, v19
	s_waitcnt vmcnt(0)
	v_mul_f64 v[24:25], v[16:17], v[28:29]
	v_fmac_f64_e32 v[24:25], v[14:15], v[26:27]
	v_mul_f64 v[14:15], v[14:15], v[28:29]
	scratch_store_dwordx4 off, v[26:29], off offset:84 ; 16-byte Folded Spill
	s_nop 1
	v_fma_f64 v[26:27], v[16:17], v[26:27], -v[14:15]
	ds_write_b128 v220, v[24:27] offset:8640
	global_load_dwordx4 v[14:17], v[18:19], off
	global_load_dwordx4 v[26:29], v[0:1], off offset:2832
	s_waitcnt vmcnt(0)
	v_mul_f64 v[24:25], v[16:17], v[28:29]
	v_mul_f64 v[0:1], v[14:15], v[28:29]
	scratch_store_dwordx4 off, v[26:29], off offset:116 ; 16-byte Folded Spill
	v_fmac_f64_e32 v[24:25], v[14:15], v[26:27]
	s_nop 0
	v_fma_f64 v[26:27], v[16:17], v[26:27], -v[0:1]
	v_mad_u64_u32 v[0:1], s[4:5], s8, v132, v[18:19]
	v_add_co_u32_e32 v18, vcc, s26, v126
	v_add_u32_e32 v1, s2, v1
	s_nop 0
	v_addc_co_u32_e32 v19, vcc, 0, v127, vcc
	ds_write_b128 v220, v[24:27] offset:15120
	global_load_dwordx4 v[14:17], v[0:1], off
	global_load_dwordx4 v[26:29], v[18:19], off offset:1120
	s_waitcnt vmcnt(0)
	v_mul_f64 v[24:25], v[16:17], v[28:29]
	v_fmac_f64_e32 v[24:25], v[14:15], v[26:27]
	v_mul_f64 v[14:15], v[14:15], v[28:29]
	scratch_store_dwordx4 off, v[26:29], off offset:268 ; 16-byte Folded Spill
	s_nop 1
	v_fma_f64 v[26:27], v[16:17], v[26:27], -v[14:15]
	ds_write_b128 v220, v[24:27] offset:21600
	v_mad_u64_u32 v[24:25], s[4:5], s8, v132, v[0:1]
	v_add_u32_e32 v25, s2, v25
	global_load_dwordx4 v[14:17], v[24:25], off
	global_load_dwordx4 v[26:29], v[2:3], off offset:3504
	s_waitcnt vmcnt(0)
	v_mul_f64 v[0:1], v[16:17], v[28:29]
	v_fmac_f64_e32 v[0:1], v[14:15], v[26:27]
	v_mul_f64 v[2:3], v[14:15], v[28:29]
	v_mad_u64_u32 v[14:15], s[4:5], s8, v132, v[24:25]
	s_mov_b32 s4, 0x8000
	v_fma_f64 v[2:3], v[16:17], v[26:27], -v[2:3]
	v_add_co_u32_e32 v16, vcc, s4, v126
	v_add_u32_e32 v15, s2, v15
	s_nop 0
	v_addc_co_u32_e32 v17, vcc, 0, v127, vcc
	scratch_store_dwordx4 off, v[26:29], off offset:252 ; 16-byte Folded Spill
	ds_write_b128 v220, v[0:3] offset:28080
	global_load_dwordx4 v[0:3], v[14:15], off
	global_load_dwordx4 v[26:29], v[16:17], off offset:1792
	s_waitcnt vmcnt(0)
	v_mul_f64 v[24:25], v[2:3], v[28:29]
	scratch_store_dwordx4 off, v[26:29], off offset:284 ; 16-byte Folded Spill
	v_fmac_f64_e32 v[24:25], v[0:1], v[26:27]
	v_mul_f64 v[0:1], v[0:1], v[28:29]
	v_mad_u64_u32 v[28:29], s[4:5], s8, v132, v[14:15]
	s_mov_b32 s4, 0xa000
	s_nop 0
	v_add_co_u32_e32 v14, vcc, s4, v126
	v_add_u32_e32 v29, s2, v29
	s_nop 0
	v_addc_co_u32_e32 v15, vcc, 0, v127, vcc
	v_fma_f64 v[26:27], v[2:3], v[26:27], -v[0:1]
	global_load_dwordx4 v[0:3], v[28:29], off
	global_load_dwordx4 v[32:35], v[14:15], off offset:80
	ds_write_b128 v220, v[24:27] offset:34560
	v_mad_u64_u32 v[28:29], s[4:5], s8, v132, v[28:29]
	v_add_u32_e32 v29, s2, v29
	s_waitcnt vmcnt(0)
	v_mul_f64 v[24:25], v[2:3], v[34:35]
	v_fmac_f64_e32 v[24:25], v[0:1], v[32:33]
	v_mul_f64 v[0:1], v[0:1], v[34:35]
	v_fma_f64 v[26:27], v[2:3], v[32:33], -v[0:1]
	scratch_store_dwordx4 off, v[32:35], off offset:316 ; 16-byte Folded Spill
	ds_write_b128 v220, v[24:27] offset:41040
	global_load_dwordx4 v[0:3], v[28:29], off
	global_load_dwordx4 v[32:35], v[12:13], off offset:2464
	v_mad_u64_u32 v[28:29], s[4:5], s8, v132, v[28:29]
	s_mov_b32 s4, 0xd000
	s_nop 0
	v_add_co_u32_e32 v12, vcc, s4, v126
	v_add_u32_e32 v29, s2, v29
	s_nop 0
	v_addc_co_u32_e32 v13, vcc, 0, v127, vcc
	s_waitcnt vmcnt(0)
	v_mul_f64 v[24:25], v[2:3], v[34:35]
	v_fmac_f64_e32 v[24:25], v[0:1], v[32:33]
	v_mul_f64 v[0:1], v[0:1], v[34:35]
	scratch_store_dwordx4 off, v[32:35], off offset:300 ; 16-byte Folded Spill
	v_fma_f64 v[26:27], v[2:3], v[32:33], -v[0:1]
	global_load_dwordx4 v[0:3], v[28:29], off
	global_load_dwordx4 v[32:35], v[12:13], off offset:752
	ds_write_b128 v220, v[24:27] offset:47520
	s_waitcnt vmcnt(0)
	v_mul_f64 v[24:25], v[2:3], v[34:35]
	v_fmac_f64_e32 v[24:25], v[0:1], v[32:33]
	v_mul_f64 v[0:1], v[0:1], v[34:35]
	v_fma_f64 v[26:27], v[2:3], v[32:33], -v[0:1]
	ds_write_b128 v220, v[24:27] offset:54000
	v_mad_u64_u32 v[26:27], s[4:5], s8, v132, v[28:29]
	scratch_store_dwordx4 off, v[32:35], off offset:348 ; 16-byte Folded Spill
	v_add_u32_e32 v27, s2, v27
	global_load_dwordx4 v[0:3], v[26:27], off
	global_load_dwordx4 v[32:35], v[22:23], off offset:3136
	s_mov_b64 s[4:5], 0x10e
	v_lshl_add_u64 v[146:147], v[224:225], 0, s[4:5]
	s_waitcnt vmcnt(0)
	v_mul_f64 v[22:23], v[2:3], v[34:35]
	v_fmac_f64_e32 v[22:23], v[0:1], v[32:33]
	v_mul_f64 v[0:1], v[0:1], v[34:35]
	v_fma_f64 v[24:25], v[2:3], v[32:33], -v[0:1]
	ds_write_b128 v220, v[22:25] offset:60480
	v_mad_u64_u32 v[22:23], s[4:5], s8, v30, v[26:27]
	scratch_store_dwordx4 off, v[32:35], off offset:332 ; 16-byte Folded Spill
	v_add_u32_e32 v23, s3, v23
	global_load_dwordx4 v[0:3], v[22:23], off
	global_load_dwordx4 v[26:29], v[10:11], off offset:224
	s_mov_b64 s[4:5], 0x2a3
	v_lshl_add_u64 v[142:143], v[224:225], 0, s[4:5]
	v_mad_u64_u32 v[10:11], s[4:5], s8, v132, v[22:23]
	v_add_u32_e32 v11, s2, v11
	s_mov_b64 s[4:5], 0x438
	v_lshl_add_u64 v[140:141], v[224:225], 0, s[4:5]
	s_waitcnt vmcnt(0)
	v_mul_f64 v[24:25], v[2:3], v[28:29]
	v_fmac_f64_e32 v[24:25], v[0:1], v[26:27]
	v_mul_f64 v[0:1], v[0:1], v[28:29]
	scratch_store_dwordx4 off, v[26:29], off offset:180 ; 16-byte Folded Spill
	s_nop 1
	v_fma_f64 v[26:27], v[2:3], v[26:27], -v[0:1]
	ds_write_b128 v220, v[24:27] offset:4320
	global_load_dwordx4 v[0:3], v[10:11], off
	global_load_dwordx4 v[22:25], v[20:21], off offset:2608
	s_waitcnt vmcnt(0)
	v_mul_f64 v[20:21], v[2:3], v[24:25]
	v_fmac_f64_e32 v[20:21], v[0:1], v[22:23]
	v_mul_f64 v[0:1], v[0:1], v[24:25]
	scratch_store_dwordx4 off, v[22:25], off offset:200 ; 16-byte Folded Spill
	s_nop 1
	v_fma_f64 v[22:23], v[2:3], v[22:23], -v[0:1]
	ds_write_b128 v220, v[20:23] offset:10800
	v_mad_u64_u32 v[20:21], s[4:5], s8, v132, v[10:11]
	v_add_u32_e32 v21, s2, v21
	global_load_dwordx4 v[0:3], v[20:21], off
	global_load_dwordx4 v[22:25], v[8:9], off offset:896
	v_mad_u64_u32 v[20:21], s[4:5], s8, v132, v[20:21]
	v_add_u32_e32 v21, s2, v21
	s_waitcnt vmcnt(0)
	v_mul_f64 v[8:9], v[2:3], v[24:25]
	v_fmac_f64_e32 v[8:9], v[0:1], v[22:23]
	v_mul_f64 v[0:1], v[0:1], v[24:25]
	v_fma_f64 v[10:11], v[2:3], v[22:23], -v[0:1]
	scratch_store_dwordx4 off, v[22:25], off offset:164 ; 16-byte Folded Spill
	ds_write_b128 v220, v[8:11] offset:17280
	global_load_dwordx4 v[0:3], v[20:21], off
	global_load_dwordx4 v[22:25], v[18:19], off offset:3280
	s_waitcnt vmcnt(0)
	v_mul_f64 v[8:9], v[2:3], v[24:25]
	v_fmac_f64_e32 v[8:9], v[0:1], v[22:23]
	v_mul_f64 v[0:1], v[0:1], v[24:25]
	v_fma_f64 v[10:11], v[2:3], v[22:23], -v[0:1]
	v_mad_u64_u32 v[0:1], s[4:5], s8, v132, v[20:21]
	scratch_store_dwordx4 off, v[22:25], off offset:148 ; 16-byte Folded Spill
	ds_write_b128 v220, v[8:11] offset:23760
	v_add_u32_e32 v1, s2, v1
	global_load_dwordx4 v[8:11], v[0:1], off
	global_load_dwordx4 v[18:21], v[6:7], off offset:1568
	s_waitcnt vmcnt(0)
	v_mul_f64 v[6:7], v[10:11], v[20:21]
	v_mul_f64 v[2:3], v[8:9], v[20:21]
	v_fmac_f64_e32 v[6:7], v[8:9], v[18:19]
	v_fma_f64 v[8:9], v[10:11], v[18:19], -v[2:3]
	v_mad_u64_u32 v[10:11], s[4:5], s8, v132, v[0:1]
	scratch_store_dwordx4 off, v[18:21], off offset:100 ; 16-byte Folded Spill
	ds_write_b128 v220, v[6:9] offset:30240
	v_add_u32_e32 v11, s2, v11
	global_load_dwordx4 v[0:3], v[10:11], off
	s_nop 0
	global_load_dwordx4 v[16:19], v[16:17], off offset:3952
	v_mad_u64_u32 v[10:11], s[4:5], s8, v132, v[10:11]
	v_add_u32_e32 v11, s2, v11
	s_waitcnt vmcnt(0)
	v_mul_f64 v[6:7], v[2:3], v[18:19]
	v_fmac_f64_e32 v[6:7], v[0:1], v[16:17]
	v_mul_f64 v[0:1], v[0:1], v[18:19]
	v_fma_f64 v[8:9], v[2:3], v[16:17], -v[0:1]
	scratch_store_dwordx4 off, v[16:19], off offset:476 ; 16-byte Folded Spill
	ds_write_b128 v220, v[6:9] offset:36720
	global_load_dwordx4 v[0:3], v[10:11], off
	s_nop 0
	global_load_dwordx4 v[14:17], v[14:15], off offset:2240
	s_waitcnt vmcnt(0)
	v_mul_f64 v[6:7], v[2:3], v[16:17]
	v_fmac_f64_e32 v[6:7], v[0:1], v[14:15]
	v_mul_f64 v[0:1], v[0:1], v[16:17]
	v_fma_f64 v[8:9], v[2:3], v[14:15], -v[0:1]
	ds_write_b128 v220, v[6:9] offset:43200
	v_mad_u64_u32 v[8:9], s[4:5], s8, v132, v[10:11]
	scratch_store_dwordx4 off, v[14:17], off offset:412 ; 16-byte Folded Spill
	v_add_u32_e32 v9, s2, v9
	global_load_dwordx4 v[0:3], v[8:9], off
	global_load_dwordx4 v[14:17], v[4:5], off offset:528
	v_mad_u64_u32 v[8:9], s[4:5], s8, v132, v[8:9]
	v_add_u32_e32 v9, s2, v9
	s_waitcnt vmcnt(0)
	v_mul_f64 v[4:5], v[2:3], v[16:17]
	v_fmac_f64_e32 v[4:5], v[0:1], v[14:15]
	v_mul_f64 v[0:1], v[0:1], v[16:17]
	v_fma_f64 v[6:7], v[2:3], v[14:15], -v[0:1]
	scratch_store_dwordx4 off, v[14:17], off offset:444 ; 16-byte Folded Spill
	ds_write_b128 v220, v[4:7] offset:49680
	global_load_dwordx4 v[0:3], v[8:9], off
	s_nop 0
	global_load_dwordx4 v[10:13], v[12:13], off offset:2912
	s_waitcnt vmcnt(0)
	v_mul_f64 v[4:5], v[2:3], v[12:13]
	v_fmac_f64_e32 v[4:5], v[0:1], v[10:11]
	v_mul_f64 v[0:1], v[0:1], v[12:13]
	v_fma_f64 v[6:7], v[2:3], v[10:11], -v[0:1]
	v_mad_u64_u32 v[0:1], s[4:5], s8, v132, v[8:9]
	v_add_u32_e32 v1, s2, v1
	s_mov_b32 s2, 0xf000
	v_add_co_u32_e32 v250, vcc, s2, v126
	ds_write_b128 v220, v[4:7] offset:56160
	s_nop 0
	v_addc_co_u32_e32 v251, vcc, 0, v127, vcc
	global_load_dwordx4 v[4:7], v[250:251], off offset:1200
	s_mov_b32 s8, 0x134454ff
	global_load_dwordx4 v[0:3], v[0:1], off
	s_mov_b32 s9, 0x3fee6f0e
	scratch_store_dwordx4 off, v[10:13], off offset:380 ; 16-byte Folded Spill
	s_mov_b32 s14, s8
	s_movk_i32 s2, 0xcd
	s_mov_b32 s5, 0xbfebb67a
	v_cmp_gt_u16_e32 vcc, 15, v224
	s_waitcnt vmcnt(2)
	v_mov_b64_e32 v[8:9], v[6:7]
	v_mov_b64_e32 v[6:7], v[4:5]
	s_waitcnt vmcnt(1)
	v_mul_f64 v[4:5], v[2:3], v[8:9]
	v_fmac_f64_e32 v[4:5], v[0:1], v[6:7]
	v_mul_f64 v[0:1], v[0:1], v[8:9]
	scratch_store_dwordx4 off, v[6:9], off offset:52 ; 16-byte Folded Spill
	s_nop 1
	v_fma_f64 v[6:7], v[2:3], v[6:7], -v[0:1]
	ds_write_b128 v220, v[4:7] offset:62640
	s_waitcnt lgkmcnt(0)
	s_barrier
	ds_read_b128 v[32:35], v220
	ds_read_b128 v[18:21], v220 offset:6480
	ds_read_b128 v[22:25], v220 offset:12960
	ds_read_b128 v[0:3], v220 offset:19440
	ds_read_b128 v[26:29], v220 offset:25920
	ds_read_b128 v[4:7], v220 offset:32400
	ds_read_b128 v[36:39], v220 offset:38880
	ds_read_b128 v[8:11], v220 offset:45360
	ds_read_b128 v[122:125], v220 offset:51840
	ds_read_b128 v[12:15], v220 offset:58320
	ds_read_b128 v[94:97], v220 offset:2160
	ds_read_b128 v[82:85], v220 offset:8640
	ds_read_b128 v[86:89], v220 offset:15120
	ds_read_b128 v[64:67], v220 offset:21600
	ds_read_b128 v[90:93], v220 offset:28080
	ds_read_b128 v[68:71], v220 offset:34560
	ds_read_b128 v[98:101], v220 offset:41040
	ds_read_b128 v[72:75], v220 offset:47520
	ds_read_b128 v[102:105], v220 offset:54000
	ds_read_b128 v[76:79], v220 offset:60480
	ds_read_b128 v[40:43], v220 offset:4320
	ds_read_b128 v[44:47], v220 offset:10800
	ds_read_b128 v[106:109], v220 offset:17280
	ds_read_b128 v[48:51], v220 offset:23760
	ds_read_b128 v[110:113], v220 offset:30240
	ds_read_b128 v[52:55], v220 offset:36720
	ds_read_b128 v[114:117], v220 offset:43200
	ds_read_b128 v[56:59], v220 offset:49680
	ds_read_b128 v[118:121], v220 offset:56160
	ds_read_b128 v[60:63], v220 offset:62640
	s_waitcnt lgkmcnt(14)
	v_add_f64 v[16:17], v[32:33], v[22:23]
	v_add_f64 v[16:17], v[16:17], v[26:27]
	v_add_f64 v[16:17], v[16:17], v[36:37]
	v_add_f64 v[80:81], v[16:17], v[122:123]
	v_add_f64 v[16:17], v[26:27], v[36:37]
	v_fma_f64 v[30:31], -0.5, v[16:17], v[32:33]
	v_add_f64 v[16:17], v[24:25], -v[124:125]
	v_fma_f64 v[148:149], s[8:9], v[16:17], v[30:31]
	v_add_f64 v[128:129], v[28:29], -v[38:39]
	v_add_f64 v[150:151], v[22:23], -v[26:27]
	;; [unrolled: 1-line block ×3, first 2 shown]
	v_fmac_f64_e32 v[30:31], s[14:15], v[16:17]
	v_fmac_f64_e32 v[148:149], s[10:11], v[128:129]
	v_add_f64 v[150:151], v[150:151], v[152:153]
	v_fmac_f64_e32 v[30:31], s[16:17], v[128:129]
	v_fmac_f64_e32 v[148:149], s[12:13], v[150:151]
	;; [unrolled: 1-line block ×3, first 2 shown]
	v_add_f64 v[150:151], v[22:23], v[122:123]
	v_fmac_f64_e32 v[32:33], -0.5, v[150:151]
	v_fma_f64 v[154:155], s[14:15], v[128:129], v[32:33]
	v_fmac_f64_e32 v[32:33], s[8:9], v[128:129]
	v_fmac_f64_e32 v[154:155], s[10:11], v[16:17]
	;; [unrolled: 1-line block ×3, first 2 shown]
	v_add_f64 v[16:17], v[34:35], v[24:25]
	v_add_f64 v[16:17], v[16:17], v[28:29]
	v_add_f64 v[150:151], v[26:27], -v[22:23]
	v_add_f64 v[152:153], v[36:37], -v[122:123]
	v_add_f64 v[16:17], v[16:17], v[38:39]
	v_add_f64 v[150:151], v[150:151], v[152:153]
	;; [unrolled: 1-line block ×4, first 2 shown]
	v_fmac_f64_e32 v[154:155], s[12:13], v[150:151]
	v_fmac_f64_e32 v[32:33], s[12:13], v[150:151]
	v_fma_f64 v[150:151], -0.5, v[16:17], v[34:35]
	v_add_f64 v[16:17], v[22:23], -v[122:123]
	v_fma_f64 v[22:23], s[14:15], v[16:17], v[150:151]
	v_add_f64 v[26:27], v[26:27], -v[36:37]
	v_add_f64 v[36:37], v[24:25], -v[28:29]
	;; [unrolled: 1-line block ×3, first 2 shown]
	v_fmac_f64_e32 v[150:151], s[8:9], v[16:17]
	v_fmac_f64_e32 v[22:23], s[16:17], v[26:27]
	v_add_f64 v[36:37], v[36:37], v[122:123]
	v_fmac_f64_e32 v[150:151], s[10:11], v[26:27]
	v_fmac_f64_e32 v[22:23], s[12:13], v[36:37]
	;; [unrolled: 1-line block ×3, first 2 shown]
	v_add_f64 v[36:37], v[24:25], v[124:125]
	v_fmac_f64_e32 v[34:35], -0.5, v[36:37]
	v_fma_f64 v[122:123], s[8:9], v[26:27], v[34:35]
	v_fmac_f64_e32 v[34:35], s[14:15], v[26:27]
	v_fmac_f64_e32 v[122:123], s[16:17], v[16:17]
	;; [unrolled: 1-line block ×3, first 2 shown]
	v_add_f64 v[16:17], v[18:19], v[0:1]
	v_add_f64 v[24:25], v[28:29], -v[24:25]
	v_add_f64 v[28:29], v[38:39], -v[124:125]
	v_add_f64 v[16:17], v[16:17], v[4:5]
	v_add_f64 v[24:25], v[24:25], v[28:29]
	;; [unrolled: 1-line block ×3, first 2 shown]
	v_fmac_f64_e32 v[122:123], s[12:13], v[24:25]
	v_fmac_f64_e32 v[34:35], s[12:13], v[24:25]
	v_add_f64 v[24:25], v[16:17], v[12:13]
	v_add_f64 v[16:17], v[4:5], v[8:9]
	v_fma_f64 v[26:27], -0.5, v[16:17], v[18:19]
	v_add_f64 v[16:17], v[2:3], -v[14:15]
	v_fma_f64 v[28:29], s[8:9], v[16:17], v[26:27]
	v_add_f64 v[36:37], v[6:7], -v[10:11]
	v_add_f64 v[38:39], v[0:1], -v[4:5]
	;; [unrolled: 1-line block ×3, first 2 shown]
	v_fmac_f64_e32 v[26:27], s[14:15], v[16:17]
	v_fmac_f64_e32 v[28:29], s[10:11], v[36:37]
	v_add_f64 v[38:39], v[38:39], v[124:125]
	v_fmac_f64_e32 v[26:27], s[16:17], v[36:37]
	v_fmac_f64_e32 v[28:29], s[12:13], v[38:39]
	;; [unrolled: 1-line block ×3, first 2 shown]
	v_add_f64 v[38:39], v[0:1], v[12:13]
	v_fmac_f64_e32 v[18:19], -0.5, v[38:39]
	v_fma_f64 v[124:125], s[14:15], v[36:37], v[18:19]
	v_fmac_f64_e32 v[18:19], s[8:9], v[36:37]
	v_fmac_f64_e32 v[124:125], s[10:11], v[16:17]
	;; [unrolled: 1-line block ×3, first 2 shown]
	v_add_f64 v[16:17], v[20:21], v[2:3]
	v_add_f64 v[38:39], v[4:5], -v[0:1]
	v_add_f64 v[128:129], v[8:9], -v[12:13]
	v_add_f64 v[16:17], v[16:17], v[6:7]
	v_add_f64 v[38:39], v[38:39], v[128:129]
	;; [unrolled: 1-line block ×3, first 2 shown]
	v_fmac_f64_e32 v[124:125], s[12:13], v[38:39]
	v_fmac_f64_e32 v[18:19], s[12:13], v[38:39]
	v_add_f64 v[38:39], v[16:17], v[14:15]
	v_add_f64 v[16:17], v[6:7], v[10:11]
	v_fma_f64 v[36:37], -0.5, v[16:17], v[20:21]
	v_add_f64 v[0:1], v[0:1], -v[12:13]
	v_fma_f64 v[128:129], s[14:15], v[0:1], v[36:37]
	v_add_f64 v[4:5], v[4:5], -v[8:9]
	v_add_f64 v[8:9], v[2:3], -v[6:7]
	;; [unrolled: 1-line block ×3, first 2 shown]
	v_fmac_f64_e32 v[36:37], s[8:9], v[0:1]
	v_fmac_f64_e32 v[128:129], s[16:17], v[4:5]
	v_add_f64 v[8:9], v[8:9], v[12:13]
	v_fmac_f64_e32 v[36:37], s[10:11], v[4:5]
	v_fmac_f64_e32 v[128:129], s[12:13], v[8:9]
	;; [unrolled: 1-line block ×3, first 2 shown]
	v_add_f64 v[8:9], v[2:3], v[14:15]
	v_fmac_f64_e32 v[20:21], -0.5, v[8:9]
	v_fma_f64 v[156:157], s[8:9], v[4:5], v[20:21]
	v_add_f64 v[2:3], v[6:7], -v[2:3]
	v_add_f64 v[6:7], v[10:11], -v[14:15]
	v_fmac_f64_e32 v[156:157], s[16:17], v[0:1]
	v_add_f64 v[2:3], v[2:3], v[6:7]
	v_fmac_f64_e32 v[156:157], s[12:13], v[2:3]
	v_fmac_f64_e32 v[20:21], s[14:15], v[4:5]
	;; [unrolled: 1-line block ×3, first 2 shown]
	v_mul_f64 v[160:161], v[156:157], s[8:9]
	v_fmac_f64_e32 v[20:21], s[12:13], v[2:3]
	v_add_f64 v[8:9], v[80:81], v[24:25]
	v_mul_f64 v[158:159], v[28:29], s[22:23]
	v_fmac_f64_e32 v[160:161], s[12:13], v[124:125]
	v_mul_f64 v[166:167], v[28:29], s[16:17]
	v_mul_f64 v[124:125], v[124:125], s[14:15]
	v_add_f64 v[28:29], v[80:81], -v[24:25]
	v_add_f64 v[80:81], v[94:95], v[86:87]
	v_fmac_f64_e32 v[158:159], s[10:11], v[128:129]
	v_mul_f64 v[162:163], v[18:19], s[20:21]
	v_mul_f64 v[164:165], v[26:27], s[18:19]
	v_fmac_f64_e32 v[166:167], s[22:23], v[128:129]
	v_fmac_f64_e32 v[124:125], s[12:13], v[156:157]
	v_mul_f64 v[128:129], v[20:21], s[20:21]
	v_mul_f64 v[156:157], v[36:37], s[18:19]
	v_add_f64 v[80:81], v[80:81], v[90:91]
	v_fmac_f64_e32 v[162:163], s[8:9], v[20:21]
	v_fmac_f64_e32 v[164:165], s[10:11], v[36:37]
	;; [unrolled: 1-line block ×4, first 2 shown]
	s_waitcnt lgkmcnt(13)
	v_add_f64 v[80:81], v[80:81], v[98:99]
	v_add_f64 v[16:17], v[32:33], v[162:163]
	;; [unrolled: 1-line block ×6, first 2 shown]
	v_add_f64 v[36:37], v[32:33], -v[162:163]
	v_add_f64 v[32:33], v[30:31], -v[164:165]
	;; [unrolled: 1-line block ×5, first 2 shown]
	s_waitcnt lgkmcnt(11)
	v_add_f64 v[150:151], v[80:81], v[102:103]
	v_add_f64 v[80:81], v[90:91], v[98:99]
	;; [unrolled: 1-line block ×4, first 2 shown]
	v_add_f64 v[26:27], v[22:23], -v[166:167]
	v_add_f64 v[22:23], v[122:123], -v[124:125]
	v_fma_f64 v[122:123], -0.5, v[80:81], v[94:95]
	v_add_f64 v[80:81], v[88:89], -v[104:105]
	v_add_f64 v[4:5], v[148:149], v[158:159]
	v_add_f64 v[24:25], v[148:149], -v[158:159]
	v_fma_f64 v[152:153], s[8:9], v[80:81], v[122:123]
	v_add_f64 v[124:125], v[92:93], -v[100:101]
	v_add_f64 v[128:129], v[86:87], -v[90:91]
	;; [unrolled: 1-line block ×3, first 2 shown]
	v_fmac_f64_e32 v[122:123], s[14:15], v[80:81]
	v_fmac_f64_e32 v[152:153], s[10:11], v[124:125]
	v_add_f64 v[128:129], v[128:129], v[148:149]
	v_fmac_f64_e32 v[122:123], s[16:17], v[124:125]
	v_fmac_f64_e32 v[152:153], s[12:13], v[128:129]
	v_fmac_f64_e32 v[122:123], s[12:13], v[128:129]
	v_add_f64 v[128:129], v[86:87], v[102:103]
	v_fmac_f64_e32 v[94:95], -0.5, v[128:129]
	v_fma_f64 v[156:157], s[14:15], v[124:125], v[94:95]
	v_fmac_f64_e32 v[94:95], s[8:9], v[124:125]
	v_fmac_f64_e32 v[156:157], s[10:11], v[80:81]
	v_fmac_f64_e32 v[94:95], s[16:17], v[80:81]
	v_add_f64 v[80:81], v[96:97], v[88:89]
	v_add_f64 v[80:81], v[80:81], v[92:93]
	v_add_f64 v[128:129], v[90:91], -v[86:87]
	v_add_f64 v[148:149], v[98:99], -v[102:103]
	v_add_f64 v[80:81], v[80:81], v[100:101]
	v_add_f64 v[128:129], v[128:129], v[148:149]
	;; [unrolled: 1-line block ×4, first 2 shown]
	v_fma_f64 v[124:125], -0.5, v[80:81], v[96:97]
	v_add_f64 v[80:81], v[86:87], -v[102:103]
	v_fma_f64 v[86:87], s[14:15], v[80:81], v[124:125]
	v_add_f64 v[90:91], v[90:91], -v[98:99]
	v_add_f64 v[98:99], v[88:89], -v[92:93]
	;; [unrolled: 1-line block ×3, first 2 shown]
	v_fmac_f64_e32 v[124:125], s[8:9], v[80:81]
	v_fmac_f64_e32 v[86:87], s[16:17], v[90:91]
	v_add_f64 v[98:99], v[98:99], v[102:103]
	v_fmac_f64_e32 v[124:125], s[10:11], v[90:91]
	v_fmac_f64_e32 v[86:87], s[12:13], v[98:99]
	;; [unrolled: 1-line block ×3, first 2 shown]
	v_add_f64 v[98:99], v[88:89], v[104:105]
	v_fmac_f64_e32 v[96:97], -0.5, v[98:99]
	v_add_f64 v[0:1], v[154:155], v[160:161]
	v_add_f64 v[20:21], v[154:155], -v[160:161]
	v_fma_f64 v[154:155], s[8:9], v[90:91], v[96:97]
	v_fmac_f64_e32 v[96:97], s[14:15], v[90:91]
	v_fmac_f64_e32 v[154:155], s[16:17], v[80:81]
	v_fmac_f64_e32 v[96:97], s[10:11], v[80:81]
	v_add_f64 v[80:81], v[82:83], v[64:65]
	v_add_f64 v[88:89], v[92:93], -v[88:89]
	v_add_f64 v[92:93], v[100:101], -v[104:105]
	v_add_f64 v[80:81], v[80:81], v[68:69]
	v_add_f64 v[88:89], v[88:89], v[92:93]
	;; [unrolled: 1-line block ×3, first 2 shown]
	v_fmac_f64_e32 v[154:155], s[12:13], v[88:89]
	v_fmac_f64_e32 v[96:97], s[12:13], v[88:89]
	s_waitcnt lgkmcnt(10)
	v_add_f64 v[88:89], v[80:81], v[76:77]
	v_add_f64 v[80:81], v[68:69], v[72:73]
	v_fma_f64 v[90:91], -0.5, v[80:81], v[82:83]
	v_add_f64 v[80:81], v[66:67], -v[78:79]
	v_fma_f64 v[98:99], s[8:9], v[80:81], v[90:91]
	v_add_f64 v[92:93], v[70:71], -v[74:75]
	v_add_f64 v[100:101], v[64:65], -v[68:69]
	;; [unrolled: 1-line block ×3, first 2 shown]
	v_fmac_f64_e32 v[90:91], s[14:15], v[80:81]
	v_fmac_f64_e32 v[98:99], s[10:11], v[92:93]
	v_add_f64 v[100:101], v[100:101], v[102:103]
	v_fmac_f64_e32 v[90:91], s[16:17], v[92:93]
	v_fmac_f64_e32 v[98:99], s[12:13], v[100:101]
	;; [unrolled: 1-line block ×3, first 2 shown]
	v_add_f64 v[100:101], v[64:65], v[76:77]
	v_fmac_f64_e32 v[82:83], -0.5, v[100:101]
	v_fma_f64 v[102:103], s[14:15], v[92:93], v[82:83]
	v_fmac_f64_e32 v[82:83], s[8:9], v[92:93]
	v_fmac_f64_e32 v[102:103], s[10:11], v[80:81]
	;; [unrolled: 1-line block ×3, first 2 shown]
	v_add_f64 v[80:81], v[84:85], v[66:67]
	v_add_f64 v[100:101], v[68:69], -v[64:65]
	v_add_f64 v[104:105], v[72:73], -v[76:77]
	v_add_f64 v[80:81], v[80:81], v[70:71]
	v_add_f64 v[100:101], v[100:101], v[104:105]
	;; [unrolled: 1-line block ×3, first 2 shown]
	v_fmac_f64_e32 v[102:103], s[12:13], v[100:101]
	v_fmac_f64_e32 v[82:83], s[12:13], v[100:101]
	v_add_f64 v[100:101], v[80:81], v[78:79]
	v_add_f64 v[80:81], v[70:71], v[74:75]
	v_fma_f64 v[92:93], -0.5, v[80:81], v[84:85]
	v_add_f64 v[64:65], v[64:65], -v[76:77]
	v_fma_f64 v[104:105], s[14:15], v[64:65], v[92:93]
	v_add_f64 v[68:69], v[68:69], -v[72:73]
	v_add_f64 v[72:73], v[66:67], -v[70:71]
	;; [unrolled: 1-line block ×3, first 2 shown]
	v_fmac_f64_e32 v[92:93], s[8:9], v[64:65]
	v_fmac_f64_e32 v[104:105], s[16:17], v[68:69]
	v_add_f64 v[72:73], v[72:73], v[76:77]
	v_fmac_f64_e32 v[92:93], s[10:11], v[68:69]
	v_fmac_f64_e32 v[104:105], s[12:13], v[72:73]
	;; [unrolled: 1-line block ×3, first 2 shown]
	v_add_f64 v[72:73], v[66:67], v[78:79]
	v_fmac_f64_e32 v[84:85], -0.5, v[72:73]
	v_fmac_f64_e32 v[156:157], s[12:13], v[128:129]
	v_fmac_f64_e32 v[94:95], s[12:13], v[128:129]
	v_fma_f64 v[128:129], s[8:9], v[68:69], v[84:85]
	v_add_f64 v[66:67], v[70:71], -v[66:67]
	v_add_f64 v[70:71], v[74:75], -v[78:79]
	v_fmac_f64_e32 v[84:85], s[14:15], v[68:69]
	v_fmac_f64_e32 v[128:129], s[16:17], v[64:65]
	v_add_f64 v[66:67], v[66:67], v[70:71]
	v_fmac_f64_e32 v[84:85], s[10:11], v[64:65]
	v_mul_f64 v[158:159], v[98:99], s[22:23]
	v_mul_f64 v[166:167], v[98:99], s[16:17]
	v_fmac_f64_e32 v[128:129], s[12:13], v[66:67]
	v_fmac_f64_e32 v[84:85], s[12:13], v[66:67]
	;; [unrolled: 1-line block ×4, first 2 shown]
	v_mul_f64 v[104:105], v[102:103], s[14:15]
	v_mul_f64 v[160:161], v[128:129], s[8:9]
	v_fmac_f64_e32 v[104:105], s[12:13], v[128:129]
	v_mul_f64 v[128:129], v[84:85], s[20:21]
	v_fmac_f64_e32 v[128:129], s[14:15], v[82:83]
	v_mul_f64 v[168:169], v[92:93], s[18:19]
	v_mul_f64 v[162:163], v[82:83], s[20:21]
	;; [unrolled: 1-line block ×3, first 2 shown]
	v_add_f64 v[70:71], v[86:87], v[166:167]
	v_add_f64 v[66:67], v[154:155], v[104:105]
	;; [unrolled: 1-line block ×3, first 2 shown]
	v_fmac_f64_e32 v[168:169], s[16:17], v[90:91]
	v_add_f64 v[90:91], v[86:87], -v[166:167]
	v_add_f64 v[86:87], v[154:155], -v[104:105]
	;; [unrolled: 1-line block ×3, first 2 shown]
	s_waitcnt lgkmcnt(7)
	v_add_f64 v[96:97], v[40:41], v[106:107]
	s_waitcnt lgkmcnt(5)
	v_add_f64 v[96:97], v[96:97], v[110:111]
	;; [unrolled: 2-line block ×3, first 2 shown]
	v_add_f64 v[72:73], v[150:151], v[88:89]
	v_add_f64 v[68:69], v[152:153], v[158:159]
	v_fmac_f64_e32 v[162:163], s[8:9], v[84:85]
	v_fmac_f64_e32 v[164:165], s[10:11], v[92:93]
	v_add_f64 v[92:93], v[150:151], -v[88:89]
	v_add_f64 v[88:89], v[152:153], -v[158:159]
	s_waitcnt lgkmcnt(1)
	v_add_f64 v[152:153], v[96:97], v[118:119]
	v_add_f64 v[96:97], v[110:111], v[114:115]
	v_fmac_f64_e32 v[160:161], s[12:13], v[102:103]
	v_add_f64 v[80:81], v[94:95], v[162:163]
	v_add_f64 v[74:75], v[148:149], v[100:101]
	v_add_f64 v[78:79], v[124:125], v[168:169]
	v_add_f64 v[102:103], v[94:95], -v[162:163]
	v_add_f64 v[94:95], v[148:149], -v[100:101]
	;; [unrolled: 1-line block ×3, first 2 shown]
	v_fma_f64 v[124:125], -0.5, v[96:97], v[40:41]
	v_add_f64 v[96:97], v[108:109], -v[120:121]
	v_add_f64 v[76:77], v[122:123], v[164:165]
	v_add_f64 v[98:99], v[122:123], -v[164:165]
	v_fma_f64 v[154:155], s[8:9], v[96:97], v[124:125]
	v_add_f64 v[122:123], v[112:113], -v[116:117]
	v_add_f64 v[128:129], v[106:107], -v[110:111]
	v_add_f64 v[148:149], v[118:119], -v[114:115]
	v_fmac_f64_e32 v[124:125], s[14:15], v[96:97]
	v_fmac_f64_e32 v[154:155], s[10:11], v[122:123]
	v_add_f64 v[128:129], v[128:129], v[148:149]
	v_fmac_f64_e32 v[124:125], s[16:17], v[122:123]
	v_fmac_f64_e32 v[154:155], s[12:13], v[128:129]
	;; [unrolled: 1-line block ×3, first 2 shown]
	v_add_f64 v[128:129], v[106:107], v[118:119]
	v_fmac_f64_e32 v[40:41], -0.5, v[128:129]
	v_fma_f64 v[158:159], s[14:15], v[122:123], v[40:41]
	v_fmac_f64_e32 v[40:41], s[8:9], v[122:123]
	v_fmac_f64_e32 v[158:159], s[10:11], v[96:97]
	;; [unrolled: 1-line block ×3, first 2 shown]
	v_add_f64 v[96:97], v[42:43], v[108:109]
	v_add_f64 v[96:97], v[96:97], v[112:113]
	v_add_f64 v[128:129], v[110:111], -v[106:107]
	v_add_f64 v[148:149], v[114:115], -v[118:119]
	v_add_f64 v[96:97], v[96:97], v[116:117]
	v_add_f64 v[128:129], v[128:129], v[148:149]
	;; [unrolled: 1-line block ×4, first 2 shown]
	v_fma_f64 v[96:97], -0.5, v[96:97], v[42:43]
	v_add_f64 v[106:107], v[106:107], -v[118:119]
	v_fma_f64 v[150:151], s[14:15], v[106:107], v[96:97]
	v_add_f64 v[110:111], v[110:111], -v[114:115]
	v_add_f64 v[114:115], v[108:109], -v[112:113]
	;; [unrolled: 1-line block ×3, first 2 shown]
	v_fmac_f64_e32 v[96:97], s[8:9], v[106:107]
	v_fmac_f64_e32 v[150:151], s[16:17], v[110:111]
	v_add_f64 v[114:115], v[114:115], v[118:119]
	v_fmac_f64_e32 v[96:97], s[10:11], v[110:111]
	v_fmac_f64_e32 v[150:151], s[12:13], v[114:115]
	;; [unrolled: 1-line block ×3, first 2 shown]
	v_add_f64 v[114:115], v[108:109], v[120:121]
	v_fmac_f64_e32 v[42:43], -0.5, v[114:115]
	v_add_f64 v[64:65], v[156:157], v[160:161]
	v_add_f64 v[84:85], v[156:157], -v[160:161]
	v_fma_f64 v[156:157], s[8:9], v[110:111], v[42:43]
	v_fmac_f64_e32 v[42:43], s[14:15], v[110:111]
	v_fmac_f64_e32 v[156:157], s[16:17], v[106:107]
	;; [unrolled: 1-line block ×3, first 2 shown]
	v_add_f64 v[106:107], v[44:45], v[48:49]
	v_add_f64 v[106:107], v[106:107], v[52:53]
	;; [unrolled: 1-line block ×3, first 2 shown]
	v_add_f64 v[108:109], v[112:113], -v[108:109]
	v_add_f64 v[112:113], v[116:117], -v[120:121]
	s_waitcnt lgkmcnt(0)
	v_add_f64 v[110:111], v[106:107], v[60:61]
	v_add_f64 v[106:107], v[52:53], v[56:57]
	;; [unrolled: 1-line block ×3, first 2 shown]
	v_fma_f64 v[112:113], -0.5, v[106:107], v[44:45]
	v_add_f64 v[106:107], v[50:51], -v[62:63]
	v_fmac_f64_e32 v[156:157], s[12:13], v[108:109]
	v_fmac_f64_e32 v[42:43], s[12:13], v[108:109]
	v_fma_f64 v[108:109], s[8:9], v[106:107], v[112:113]
	v_add_f64 v[114:115], v[54:55], -v[58:59]
	v_add_f64 v[116:117], v[48:49], -v[52:53]
	;; [unrolled: 1-line block ×3, first 2 shown]
	v_fmac_f64_e32 v[112:113], s[14:15], v[106:107]
	v_fmac_f64_e32 v[108:109], s[10:11], v[114:115]
	v_add_f64 v[116:117], v[116:117], v[118:119]
	v_fmac_f64_e32 v[112:113], s[16:17], v[114:115]
	v_fmac_f64_e32 v[108:109], s[12:13], v[116:117]
	v_fmac_f64_e32 v[112:113], s[12:13], v[116:117]
	v_add_f64 v[116:117], v[48:49], v[60:61]
	v_fmac_f64_e32 v[44:45], -0.5, v[116:117]
	v_fma_f64 v[118:119], s[14:15], v[114:115], v[44:45]
	v_fmac_f64_e32 v[44:45], s[8:9], v[114:115]
	v_fmac_f64_e32 v[118:119], s[10:11], v[106:107]
	;; [unrolled: 1-line block ×3, first 2 shown]
	v_add_f64 v[106:107], v[46:47], v[50:51]
	v_add_f64 v[116:117], v[52:53], -v[48:49]
	v_add_f64 v[120:121], v[56:57], -v[60:61]
	v_add_f64 v[106:107], v[106:107], v[54:55]
	v_add_f64 v[116:117], v[116:117], v[120:121]
	;; [unrolled: 1-line block ×3, first 2 shown]
	v_fmac_f64_e32 v[118:119], s[12:13], v[116:117]
	v_fmac_f64_e32 v[44:45], s[12:13], v[116:117]
	v_add_f64 v[116:117], v[106:107], v[62:63]
	v_add_f64 v[106:107], v[54:55], v[58:59]
	v_fma_f64 v[114:115], -0.5, v[106:107], v[46:47]
	v_add_f64 v[48:49], v[48:49], -v[60:61]
	v_fma_f64 v[120:121], s[14:15], v[48:49], v[114:115]
	v_add_f64 v[52:53], v[52:53], -v[56:57]
	v_add_f64 v[56:57], v[50:51], -v[54:55]
	;; [unrolled: 1-line block ×3, first 2 shown]
	v_fmac_f64_e32 v[114:115], s[8:9], v[48:49]
	v_fmac_f64_e32 v[120:121], s[16:17], v[52:53]
	v_add_f64 v[56:57], v[56:57], v[60:61]
	v_fmac_f64_e32 v[114:115], s[10:11], v[52:53]
	v_fmac_f64_e32 v[120:121], s[12:13], v[56:57]
	;; [unrolled: 1-line block ×3, first 2 shown]
	v_add_f64 v[56:57], v[50:51], v[62:63]
	v_fmac_f64_e32 v[46:47], -0.5, v[56:57]
	v_fma_f64 v[122:123], s[8:9], v[52:53], v[46:47]
	v_add_f64 v[50:51], v[54:55], -v[50:51]
	v_add_f64 v[54:55], v[58:59], -v[62:63]
	v_fmac_f64_e32 v[46:47], s[14:15], v[52:53]
	v_fmac_f64_e32 v[158:159], s[12:13], v[128:129]
	;; [unrolled: 1-line block ×4, first 2 shown]
	v_add_f64 v[50:51], v[50:51], v[54:55]
	v_fmac_f64_e32 v[46:47], s[10:11], v[48:49]
	v_mul_f64 v[128:129], v[108:109], s[22:23]
	v_mul_f64 v[166:167], v[108:109], s[16:17]
	v_fmac_f64_e32 v[122:123], s[12:13], v[50:51]
	v_fmac_f64_e32 v[46:47], s[12:13], v[50:51]
	;; [unrolled: 1-line block ×4, first 2 shown]
	v_mul_f64 v[120:121], v[118:119], s[14:15]
	v_mul_f64 v[160:161], v[122:123], s[8:9]
	v_fmac_f64_e32 v[120:121], s[12:13], v[122:123]
	v_mul_f64 v[168:169], v[46:47], s[20:21]
	v_mul_f64 v[122:123], v[114:115], s[18:19]
	;; [unrolled: 1-line block ×3, first 2 shown]
	v_fmac_f64_e32 v[168:169], s[14:15], v[44:45]
	v_fmac_f64_e32 v[122:123], s[16:17], v[112:113]
	;; [unrolled: 1-line block ×3, first 2 shown]
	v_add_f64 v[50:51], v[156:157], v[120:121]
	v_add_f64 v[108:109], v[42:43], v[168:169]
	;; [unrolled: 1-line block ×3, first 2 shown]
	v_add_f64 v[46:47], v[156:157], -v[120:121]
	v_add_f64 v[120:121], v[42:43], -v[168:169]
	;; [unrolled: 1-line block ×3, first 2 shown]
	v_mul_lo_u16_e32 v96, 10, v224
	v_lshlrev_b32_e32 v238, 4, v96
	s_barrier
	ds_write_b128 v238, v[8:11]
	ds_write_b128 v238, v[4:7] offset:16
	ds_write_b128 v238, v[0:3] offset:32
	ds_write_b128 v238, v[16:19] offset:48
	ds_write_b128 v238, v[12:15] offset:64
	ds_write_b128 v238, v[28:31] offset:80
	ds_write_b128 v238, v[24:27] offset:96
	ds_write_b128 v238, v[20:23] offset:112
	ds_write_b128 v238, v[36:39] offset:128
	ds_write_b128 v238, v[32:35] offset:144
	v_mul_u32_u24_e32 v0, 10, v144
	v_mul_f64 v[164:165], v[112:113], s[18:19]
	v_lshlrev_b32_e32 v239, 4, v0
	v_mul_u32_u24_e32 v0, 10, v146
	v_add_f64 v[56:57], v[152:153], v[110:111]
	v_fmac_f64_e32 v[160:161], s[12:13], v[118:119]
	v_fmac_f64_e32 v[164:165], s[10:11], v[114:115]
	v_add_f64 v[58:59], v[148:149], v[116:117]
	v_lshlrev_b32_e32 v131, 4, v0
	v_add_f64 v[52:53], v[154:155], v[128:129]
	v_add_f64 v[48:49], v[158:159], v[160:161]
	;; [unrolled: 1-line block ×5, first 2 shown]
	v_add_f64 v[114:115], v[152:153], -v[110:111]
	v_add_f64 v[110:111], v[154:155], -v[128:129]
	;; [unrolled: 1-line block ×7, first 2 shown]
	ds_write_b128 v239, v[72:75]
	ds_write_b128 v239, v[68:71] offset:16
	ds_write_b128 v239, v[64:67] offset:32
	;; [unrolled: 1-line block ×9, first 2 shown]
	ds_write_b128 v131, v[56:59]
	ds_write_b128 v131, v[52:55] offset:16
	ds_write_b128 v131, v[48:51] offset:32
	;; [unrolled: 1-line block ×9, first 2 shown]
	v_mul_lo_u16_sdwa v120, v224, s2 dst_sel:DWORD dst_unused:UNUSED_PAD src0_sel:BYTE_0 src1_sel:DWORD
	v_lshrrev_b16_e32 v212, 11, v120
	v_mul_lo_u16_e32 v120, 10, v212
	v_sub_u16_e32 v120, v224, v120
	v_and_b32_e32 v213, 0xff, v120
	v_lshlrev_b32_e32 v120, 6, v213
	s_waitcnt lgkmcnt(0)
	s_barrier
	ds_read_b128 v[20:23], v220
	ds_read_b128 v[116:119], v220 offset:12960
	ds_read_b128 v[112:115], v220 offset:25920
	;; [unrolled: 1-line block ×29, first 2 shown]
	global_load_dwordx4 v[150:153], v120, s[6:7] offset:48
	global_load_dwordx4 v[154:157], v120, s[6:7] offset:32
	;; [unrolled: 1-line block ×3, first 2 shown]
	global_load_dwordx4 v[162:165], v120, s[6:7]
	s_mov_b32 s2, 0xcccd
	s_waitcnt vmcnt(3)
	scratch_store_dwordx4 off, v[150:153], off offset:540 ; 16-byte Folded Spill
	s_waitcnt vmcnt(3)
	scratch_store_dwordx4 off, v[154:157], off offset:556 ; 16-byte Folded Spill
	;; [unrolled: 2-line block ×3, first 2 shown]
	s_waitcnt vmcnt(3) lgkmcnt(14)
	v_mul_f64 v[120:121], v[118:119], v[164:165]
	v_fma_f64 v[122:123], v[116:117], v[162:163], -v[120:121]
	v_mul_f64 v[120:121], v[116:117], v[164:165]
	v_mul_f64 v[116:117], v[114:115], v[160:161]
	v_fma_f64 v[124:125], v[112:113], v[158:159], -v[116:117]
	v_mul_f64 v[112:113], v[112:113], v[160:161]
	v_fmac_f64_e32 v[112:113], v[114:115], v[158:159]
	v_mul_f64 v[114:115], v[110:111], v[156:157]
	v_fma_f64 v[148:149], v[108:109], v[154:155], -v[114:115]
	v_mul_f64 v[114:115], v[108:109], v[156:157]
	v_mul_f64 v[108:109], v[106:107], v[152:153]
	v_fmac_f64_e32 v[114:115], v[110:111], v[154:155]
	v_fma_f64 v[110:111], v[104:105], v[150:151], -v[108:109]
	v_mul_f64 v[104:105], v[104:105], v[152:153]
	v_fmac_f64_e32 v[104:105], v[106:107], v[150:151]
	v_mul_u32_u24_sdwa v106, v144, s2 dst_sel:DWORD dst_unused:UNUSED_PAD src0_sel:WORD_0 src1_sel:DWORD
	v_lshrrev_b32_e32 v210, 19, v106
	v_mul_lo_u16_e32 v106, 10, v210
	v_sub_u16_e32 v211, v144, v106
	v_lshlrev_b16_e32 v106, 2, v211
	scratch_store_dwordx4 off, v[162:165], off offset:624 ; 16-byte Folded Spill
	v_lshlrev_b32_e32 v106, 4, v106
	v_fmac_f64_e32 v[120:121], v[118:119], v[162:163]
	global_load_dwordx4 v[116:119], v106, s[6:7] offset:48
	global_load_dwordx4 v[158:161], v106, s[6:7] offset:32
	;; [unrolled: 1-line block ×3, first 2 shown]
	global_load_dwordx4 v[162:165], v106, s[6:7]
	s_waitcnt vmcnt(0)
	v_mul_f64 v[106:107], v[102:103], v[164:165]
	v_mul_f64 v[150:151], v[100:101], v[164:165]
	scratch_store_dwordx4 off, v[162:165], off offset:688 ; 16-byte Folded Spill
	v_fma_f64 v[106:107], v[100:101], v[162:163], -v[106:107]
	v_fmac_f64_e32 v[150:151], v[102:103], v[162:163]
	v_mov_b64_e32 v[164:165], v[154:155]
	v_mov_b64_e32 v[162:163], v[152:153]
	v_mul_f64 v[100:101], v[98:99], v[164:165]
	v_fma_f64 v[156:157], v[96:97], v[162:163], -v[100:101]
	v_mul_f64 v[152:153], v[96:97], v[164:165]
	v_mul_f64 v[96:97], v[94:95], v[160:161]
	v_fmac_f64_e32 v[152:153], v[98:99], v[162:163]
	v_fma_f64 v[98:99], v[92:93], v[158:159], -v[96:97]
	v_mul_f64 v[154:155], v[92:93], v[160:161]
	v_mul_f64 v[92:93], v[90:91], v[118:119]
	scratch_store_dwordx4 off, v[158:161], off offset:656 ; 16-byte Folded Spill
	v_fmac_f64_e32 v[154:155], v[94:95], v[158:159]
	scratch_store_dwordx4 off, v[162:165], off offset:672 ; 16-byte Folded Spill
	v_fma_f64 v[158:159], v[88:89], v[116:117], -v[92:93]
	v_mul_f64 v[88:89], v[88:89], v[118:119]
	v_fmac_f64_e32 v[88:89], v[90:91], v[116:117]
	v_mul_u32_u24_sdwa v90, v146, s2 dst_sel:DWORD dst_unused:UNUSED_PAD src0_sel:WORD_0 src1_sel:DWORD
	v_lshrrev_b32_e32 v139, 19, v90
	v_mul_lo_u16_e32 v90, 10, v139
	v_sub_u16_e32 v141, v146, v90
	v_lshlrev_b16_e32 v90, 2, v141
	scratch_store_dwordx4 off, v[116:119], off offset:640 ; 16-byte Folded Spill
	v_lshlrev_b32_e32 v90, 4, v90
	global_load_dwordx4 v[92:95], v90, s[6:7] offset:48
	global_load_dwordx4 v[100:103], v90, s[6:7] offset:32
	;; [unrolled: 1-line block ×3, first 2 shown]
	global_load_dwordx4 v[160:163], v90, s[6:7]
	s_waitcnt vmcnt(0)
	v_mul_f64 v[90:91], v[86:87], v[162:163]
	v_mov_b64_e32 v[164:165], v[162:163]
	v_fma_f64 v[166:167], v[84:85], v[160:161], -v[90:91]
	v_mov_b64_e32 v[162:163], v[160:161]
	v_mul_f64 v[160:161], v[84:85], v[164:165]
	v_mul_f64 v[84:85], v[82:83], v[118:119]
	scratch_store_dwordx4 off, v[162:165], off offset:752 ; 16-byte Folded Spill
	v_fmac_f64_e32 v[160:161], v[86:87], v[162:163]
	v_fma_f64 v[168:169], v[80:81], v[116:117], -v[84:85]
	v_mul_f64 v[162:163], v[80:81], v[118:119]
	v_mul_f64 v[80:81], v[78:79], v[102:103]
	v_fma_f64 v[170:171], v[76:77], v[100:101], -v[80:81]
	v_mul_f64 v[164:165], v[76:77], v[102:103]
	v_mul_f64 v[76:77], v[74:75], v[94:95]
	v_fmac_f64_e32 v[164:165], v[78:79], v[100:101]
	v_fma_f64 v[78:79], v[72:73], v[92:93], -v[76:77]
	v_mul_f64 v[72:73], v[72:73], v[94:95]
	v_fmac_f64_e32 v[72:73], v[74:75], v[92:93]
	v_mul_u32_u24_sdwa v74, v134, s2 dst_sel:DWORD dst_unused:UNUSED_PAD src0_sel:WORD_0 src1_sel:DWORD
	v_lshrrev_b32_e32 v143, 19, v74
	v_mul_lo_u16_e32 v74, 10, v143
	v_sub_u16_e32 v147, v134, v74
	v_lshlrev_b16_e32 v74, 2, v147
	scratch_store_dwordx4 off, v[116:119], off offset:736 ; 16-byte Folded Spill
	scratch_store_dwordx4 off, v[100:103], off offset:704 ; 16-byte Folded Spill
	;; [unrolled: 1-line block ×3, first 2 shown]
	v_lshlrev_b32_e32 v74, 4, v74
	v_fmac_f64_e32 v[162:163], v[82:83], v[116:117]
	global_load_dwordx4 v[80:83], v74, s[6:7] offset:48
	global_load_dwordx4 v[84:87], v74, s[6:7] offset:32
	;; [unrolled: 1-line block ×3, first 2 shown]
	global_load_dwordx4 v[94:97], v74, s[6:7]
	s_waitcnt vmcnt(2) lgkmcnt(11)
	v_mul_f64 v[178:179], v[60:61], v[86:87]
	s_waitcnt vmcnt(1)
	v_mul_f64 v[174:175], v[64:65], v[92:93]
	s_waitcnt vmcnt(0)
	v_mul_f64 v[74:75], v[70:71], v[96:97]
	v_fma_f64 v[176:177], v[68:69], v[94:95], -v[74:75]
	v_mul_f64 v[172:173], v[68:69], v[96:97]
	v_mul_f64 v[68:69], v[66:67], v[92:93]
	v_fma_f64 v[180:181], v[64:65], v[90:91], -v[68:69]
	v_mul_f64 v[64:65], v[62:63], v[86:87]
	v_fma_f64 v[182:183], v[60:61], v[84:85], -v[64:65]
	s_waitcnt lgkmcnt(10)
	v_mul_f64 v[60:61], v[58:59], v[82:83]
	v_fmac_f64_e32 v[178:179], v[62:63], v[84:85]
	v_fma_f64 v[62:63], v[56:57], v[80:81], -v[60:61]
	v_mul_f64 v[56:57], v[56:57], v[82:83]
	v_fmac_f64_e32 v[56:57], v[58:59], v[80:81]
	v_mul_u32_u24_sdwa v58, v138, s2 dst_sel:DWORD dst_unused:UNUSED_PAD src0_sel:WORD_0 src1_sel:DWORD
	v_lshrrev_b32_e32 v133, 19, v58
	v_mul_lo_u16_e32 v58, 10, v133
	v_sub_u16_e32 v137, v138, v58
	v_lshlrev_b16_e32 v58, 2, v137
	scratch_store_dwordx4 off, v[94:97], off offset:768 ; 16-byte Folded Spill
	scratch_store_dwordx4 off, v[90:93], off offset:784 ; 16-byte Folded Spill
	;; [unrolled: 1-line block ×4, first 2 shown]
	v_lshlrev_b32_e32 v58, 4, v58
	v_fmac_f64_e32 v[172:173], v[70:71], v[94:95]
	v_fmac_f64_e32 v[174:175], v[66:67], v[90:91]
	global_load_dwordx4 v[64:67], v58, s[6:7] offset:48
	global_load_dwordx4 v[68:71], v58, s[6:7] offset:32
	;; [unrolled: 1-line block ×3, first 2 shown]
	global_load_dwordx4 v[80:83], v58, s[6:7]
	s_waitcnt vmcnt(2) lgkmcnt(6)
	v_mul_f64 v[192:193], v[44:45], v[70:71]
	s_waitcnt vmcnt(1)
	v_mul_f64 v[186:187], v[48:49], v[76:77]
	s_waitcnt vmcnt(0)
	v_mul_f64 v[58:59], v[54:55], v[82:83]
	v_fma_f64 v[188:189], v[52:53], v[80:81], -v[58:59]
	v_mul_f64 v[184:185], v[52:53], v[82:83]
	v_mul_f64 v[52:53], v[50:51], v[76:77]
	v_fma_f64 v[190:191], v[48:49], v[74:75], -v[52:53]
	v_mul_f64 v[48:49], v[46:47], v[70:71]
	v_fma_f64 v[194:195], v[44:45], v[68:69], -v[48:49]
	s_waitcnt lgkmcnt(5)
	v_mul_f64 v[44:45], v[42:43], v[66:67]
	v_fmac_f64_e32 v[192:193], v[46:47], v[68:69]
	v_fma_f64 v[46:47], v[40:41], v[64:65], -v[44:45]
	v_mul_f64 v[40:41], v[40:41], v[66:67]
	v_fmac_f64_e32 v[40:41], v[42:43], v[64:65]
	v_mul_u32_u24_sdwa v42, v142, s2 dst_sel:DWORD dst_unused:UNUSED_PAD src0_sel:WORD_0 src1_sel:DWORD
	v_lshrrev_b32_e32 v128, 19, v42
	v_mul_lo_u16_e32 v42, 10, v128
	v_sub_u16_e32 v129, v142, v42
	v_lshlrev_b16_e32 v42, 2, v129
	scratch_store_dwordx4 off, v[80:83], off offset:832 ; 16-byte Folded Spill
	scratch_store_dwordx4 off, v[74:77], off offset:856 ; 16-byte Folded Spill
	;; [unrolled: 1-line block ×4, first 2 shown]
	v_lshlrev_b32_e32 v42, 4, v42
	v_fmac_f64_e32 v[184:185], v[54:55], v[80:81]
	v_fmac_f64_e32 v[186:187], v[50:51], v[74:75]
	global_load_dwordx4 v[48:51], v42, s[6:7] offset:48
	global_load_dwordx4 v[52:55], v42, s[6:7] offset:32
	global_load_dwordx4 v[58:61], v42, s[6:7] offset:16
	global_load_dwordx4 v[64:67], v42, s[6:7]
	s_waitcnt lgkmcnt(0)
	s_barrier
	s_mov_b32 s2, 0xe8584caa
	s_mov_b32 s3, 0x3febb67a
	;; [unrolled: 1-line block ×3, first 2 shown]
	s_waitcnt vmcnt(3)
	v_mul_f64 v[206:207], v[24:25], v[50:51]
	s_waitcnt vmcnt(2)
	v_mul_f64 v[202:203], v[28:29], v[54:55]
	;; [unrolled: 2-line block ×4, first 2 shown]
	v_fma_f64 v[200:201], v[36:37], v[64:65], -v[42:43]
	v_mul_f64 v[196:197], v[36:37], v[66:67]
	v_mul_f64 v[36:37], v[34:35], v[60:61]
	v_fma_f64 v[204:205], v[32:33], v[58:59], -v[36:37]
	v_mul_f64 v[32:33], v[30:31], v[54:55]
	v_fma_f64 v[208:209], v[28:29], v[52:53], -v[32:33]
	v_mul_f64 v[28:29], v[26:27], v[50:51]
	v_fmac_f64_e32 v[202:203], v[30:31], v[52:53]
	v_fma_f64 v[30:31], v[24:25], v[48:49], -v[28:29]
	v_add_f64 v[24:25], v[20:21], v[122:123]
	v_add_f64 v[24:25], v[24:25], v[124:125]
	;; [unrolled: 1-line block ×5, first 2 shown]
	v_fma_f64 v[92:93], -0.5, v[24:25], v[20:21]
	v_add_f64 v[24:25], v[120:121], -v[104:105]
	v_fmac_f64_e32 v[206:207], v[26:27], v[48:49]
	v_fma_f64 v[108:109], s[8:9], v[24:25], v[92:93]
	v_add_f64 v[26:27], v[112:113], -v[114:115]
	v_add_f64 v[28:29], v[122:123], -v[124:125]
	v_add_f64 v[32:33], v[110:111], -v[148:149]
	v_fmac_f64_e32 v[92:93], s[14:15], v[24:25]
	v_fmac_f64_e32 v[108:109], s[10:11], v[26:27]
	v_add_f64 v[28:29], v[28:29], v[32:33]
	v_fmac_f64_e32 v[92:93], s[16:17], v[26:27]
	v_fmac_f64_e32 v[108:109], s[12:13], v[28:29]
	v_fmac_f64_e32 v[92:93], s[12:13], v[28:29]
	v_add_f64 v[28:29], v[122:123], v[110:111]
	v_fmac_f64_e32 v[20:21], -0.5, v[28:29]
	v_fma_f64 v[100:101], s[14:15], v[26:27], v[20:21]
	v_fmac_f64_e32 v[20:21], s[8:9], v[26:27]
	v_fmac_f64_e32 v[100:101], s[10:11], v[24:25]
	v_fmac_f64_e32 v[20:21], s[16:17], v[24:25]
	v_add_f64 v[24:25], v[22:23], v[120:121]
	v_add_f64 v[24:25], v[24:25], v[112:113]
	v_add_f64 v[24:25], v[24:25], v[114:115]
	v_add_f64 v[28:29], v[124:125], -v[122:123]
	v_add_f64 v[32:33], v[148:149], -v[110:111]
	v_add_f64 v[118:119], v[24:25], v[104:105]
	v_add_f64 v[24:25], v[112:113], v[114:115]
	v_add_f64 v[28:29], v[28:29], v[32:33]
	v_fma_f64 v[94:95], -0.5, v[24:25], v[22:23]
	v_add_f64 v[24:25], v[122:123], -v[110:111]
	v_fmac_f64_e32 v[100:101], s[12:13], v[28:29]
	v_fmac_f64_e32 v[20:21], s[12:13], v[28:29]
	v_fma_f64 v[110:111], s[14:15], v[24:25], v[94:95]
	v_add_f64 v[26:27], v[124:125], -v[148:149]
	v_add_f64 v[28:29], v[120:121], -v[112:113]
	v_add_f64 v[32:33], v[104:105], -v[114:115]
	v_fmac_f64_e32 v[94:95], s[8:9], v[24:25]
	v_fmac_f64_e32 v[110:111], s[16:17], v[26:27]
	v_add_f64 v[28:29], v[28:29], v[32:33]
	v_fmac_f64_e32 v[94:95], s[10:11], v[26:27]
	v_fmac_f64_e32 v[110:111], s[12:13], v[28:29]
	v_fmac_f64_e32 v[94:95], s[12:13], v[28:29]
	v_add_f64 v[28:29], v[120:121], v[104:105]
	v_fmac_f64_e32 v[22:23], -0.5, v[28:29]
	v_fma_f64 v[102:103], s[8:9], v[26:27], v[22:23]
	v_fmac_f64_e32 v[22:23], s[14:15], v[26:27]
	v_fmac_f64_e32 v[102:103], s[16:17], v[24:25]
	v_fmac_f64_e32 v[22:23], s[10:11], v[24:25]
	v_add_f64 v[24:25], v[16:17], v[106:107]
	v_add_f64 v[24:25], v[24:25], v[156:157]
	v_add_f64 v[24:25], v[24:25], v[98:99]
	v_add_f64 v[28:29], v[112:113], -v[120:121]
	v_add_f64 v[32:33], v[114:115], -v[104:105]
	v_add_f64 v[112:113], v[24:25], v[158:159]
	v_add_f64 v[24:25], v[156:157], v[98:99]
	v_add_f64 v[28:29], v[28:29], v[32:33]
	v_fma_f64 v[84:85], -0.5, v[24:25], v[16:17]
	v_add_f64 v[24:25], v[150:151], -v[88:89]
	v_fmac_f64_e32 v[102:103], s[12:13], v[28:29]
	;; [unrolled: 28-line block ×5, first 2 shown]
	v_fmac_f64_e32 v[12:13], s[12:13], v[28:29]
	v_fma_f64 v[82:83], s[14:15], v[24:25], v[70:71]
	v_add_f64 v[26:27], v[168:169], -v[170:171]
	v_add_f64 v[28:29], v[160:161], -v[162:163]
	;; [unrolled: 1-line block ×3, first 2 shown]
	v_fmac_f64_e32 v[70:71], s[8:9], v[24:25]
	v_fmac_f64_e32 v[82:83], s[16:17], v[26:27]
	v_add_f64 v[28:29], v[28:29], v[32:33]
	v_fmac_f64_e32 v[70:71], s[10:11], v[26:27]
	v_fmac_f64_e32 v[82:83], s[12:13], v[28:29]
	v_fmac_f64_e32 v[70:71], s[12:13], v[28:29]
	v_add_f64 v[28:29], v[160:161], v[72:73]
	v_fmac_f64_e32 v[14:15], -0.5, v[28:29]
	v_fma_f64 v[78:79], s[8:9], v[26:27], v[14:15]
	v_fmac_f64_e32 v[14:15], s[14:15], v[26:27]
	v_fmac_f64_e32 v[78:79], s[16:17], v[24:25]
	;; [unrolled: 1-line block ×3, first 2 shown]
	v_add_f64 v[24:25], v[8:9], v[176:177]
	v_add_f64 v[24:25], v[24:25], v[180:181]
	;; [unrolled: 1-line block ×3, first 2 shown]
	v_accvgpr_write_b32 a215, v55
	v_add_f64 v[28:29], v[162:163], -v[160:161]
	v_add_f64 v[32:33], v[164:165], -v[72:73]
	v_add_f64 v[72:73], v[24:25], v[62:63]
	v_add_f64 v[24:25], v[180:181], v[182:183]
	v_accvgpr_write_b32 a207, v67
	v_accvgpr_write_b32 a214, v54
	;; [unrolled: 1-line block ×4, first 2 shown]
	v_add_f64 v[28:29], v[28:29], v[32:33]
	v_fma_f64 v[52:53], -0.5, v[24:25], v[8:9]
	v_add_f64 v[24:25], v[172:173], -v[56:57]
	v_fmac_f64_e32 v[196:197], v[38:39], v[64:65]
	v_accvgpr_write_b32 a206, v66
	v_accvgpr_write_b32 a205, v65
	;; [unrolled: 1-line block ×3, first 2 shown]
	v_fmac_f64_e32 v[78:79], s[12:13], v[28:29]
	v_fmac_f64_e32 v[14:15], s[12:13], v[28:29]
	v_fma_f64 v[64:65], s[8:9], v[24:25], v[52:53]
	v_add_f64 v[26:27], v[174:175], -v[178:179]
	v_add_f64 v[28:29], v[176:177], -v[180:181]
	;; [unrolled: 1-line block ×3, first 2 shown]
	v_fmac_f64_e32 v[52:53], s[14:15], v[24:25]
	v_fmac_f64_e32 v[64:65], s[10:11], v[26:27]
	v_add_f64 v[28:29], v[28:29], v[32:33]
	v_fmac_f64_e32 v[52:53], s[16:17], v[26:27]
	v_fmac_f64_e32 v[64:65], s[12:13], v[28:29]
	;; [unrolled: 1-line block ×3, first 2 shown]
	v_add_f64 v[28:29], v[176:177], v[62:63]
	v_accvgpr_write_b32 a211, v61
	v_fmac_f64_e32 v[8:9], -0.5, v[28:29]
	v_accvgpr_write_b32 a210, v60
	v_accvgpr_write_b32 a209, v59
	;; [unrolled: 1-line block ×3, first 2 shown]
	v_fma_f64 v[60:61], s[14:15], v[26:27], v[8:9]
	v_fmac_f64_e32 v[8:9], s[8:9], v[26:27]
	v_fmac_f64_e32 v[60:61], s[10:11], v[24:25]
	;; [unrolled: 1-line block ×3, first 2 shown]
	v_add_f64 v[24:25], v[10:11], v[172:173]
	v_add_f64 v[24:25], v[24:25], v[174:175]
	;; [unrolled: 1-line block ×3, first 2 shown]
	v_add_f64 v[28:29], v[180:181], -v[176:177]
	v_add_f64 v[32:33], v[182:183], -v[62:63]
	v_add_f64 v[74:75], v[24:25], v[56:57]
	v_add_f64 v[24:25], v[174:175], v[178:179]
	;; [unrolled: 1-line block ×3, first 2 shown]
	v_fma_f64 v[54:55], -0.5, v[24:25], v[10:11]
	v_add_f64 v[24:25], v[176:177], -v[62:63]
	v_fmac_f64_e32 v[60:61], s[12:13], v[28:29]
	v_fmac_f64_e32 v[8:9], s[12:13], v[28:29]
	v_fma_f64 v[66:67], s[14:15], v[24:25], v[54:55]
	v_add_f64 v[26:27], v[180:181], -v[182:183]
	v_add_f64 v[28:29], v[172:173], -v[174:175]
	;; [unrolled: 1-line block ×3, first 2 shown]
	v_fmac_f64_e32 v[54:55], s[8:9], v[24:25]
	v_fmac_f64_e32 v[66:67], s[16:17], v[26:27]
	v_add_f64 v[28:29], v[28:29], v[32:33]
	v_fmac_f64_e32 v[54:55], s[10:11], v[26:27]
	v_fmac_f64_e32 v[66:67], s[12:13], v[28:29]
	;; [unrolled: 1-line block ×3, first 2 shown]
	v_add_f64 v[28:29], v[172:173], v[56:57]
	v_fmac_f64_e32 v[10:11], -0.5, v[28:29]
	v_fma_f64 v[62:63], s[8:9], v[26:27], v[10:11]
	v_fmac_f64_e32 v[10:11], s[14:15], v[26:27]
	v_fmac_f64_e32 v[62:63], s[16:17], v[24:25]
	;; [unrolled: 1-line block ×3, first 2 shown]
	v_add_f64 v[24:25], v[4:5], v[188:189]
	v_add_f64 v[24:25], v[24:25], v[190:191]
	;; [unrolled: 1-line block ×3, first 2 shown]
	v_add_f64 v[28:29], v[174:175], -v[172:173]
	v_add_f64 v[32:33], v[178:179], -v[56:57]
	v_add_f64 v[56:57], v[24:25], v[46:47]
	v_add_f64 v[24:25], v[190:191], v[194:195]
	v_accvgpr_write_b32 a219, v51
	v_add_f64 v[28:29], v[28:29], v[32:33]
	v_fma_f64 v[36:37], -0.5, v[24:25], v[4:5]
	v_add_f64 v[24:25], v[184:185], -v[40:41]
	v_accvgpr_write_b32 a218, v50
	v_accvgpr_write_b32 a217, v49
	;; [unrolled: 1-line block ×3, first 2 shown]
	v_fmac_f64_e32 v[62:63], s[12:13], v[28:29]
	v_fmac_f64_e32 v[10:11], s[12:13], v[28:29]
	v_fma_f64 v[48:49], s[8:9], v[24:25], v[36:37]
	v_add_f64 v[26:27], v[186:187], -v[192:193]
	v_add_f64 v[28:29], v[188:189], -v[190:191]
	;; [unrolled: 1-line block ×3, first 2 shown]
	v_fmac_f64_e32 v[36:37], s[14:15], v[24:25]
	v_fmac_f64_e32 v[48:49], s[10:11], v[26:27]
	v_add_f64 v[28:29], v[28:29], v[32:33]
	v_fmac_f64_e32 v[36:37], s[16:17], v[26:27]
	v_fmac_f64_e32 v[48:49], s[12:13], v[28:29]
	;; [unrolled: 1-line block ×3, first 2 shown]
	v_add_f64 v[28:29], v[188:189], v[46:47]
	v_fmac_f64_e32 v[4:5], -0.5, v[28:29]
	v_fma_f64 v[44:45], s[14:15], v[26:27], v[4:5]
	v_fmac_f64_e32 v[4:5], s[8:9], v[26:27]
	v_fmac_f64_e32 v[44:45], s[10:11], v[24:25]
	;; [unrolled: 1-line block ×3, first 2 shown]
	v_add_f64 v[24:25], v[6:7], v[184:185]
	v_add_f64 v[24:25], v[24:25], v[186:187]
	;; [unrolled: 1-line block ×3, first 2 shown]
	v_fmac_f64_e32 v[198:199], v[34:35], v[58:59]
	v_add_f64 v[28:29], v[190:191], -v[188:189]
	v_add_f64 v[32:33], v[194:195], -v[46:47]
	v_add_f64 v[58:59], v[24:25], v[40:41]
	v_add_f64 v[24:25], v[186:187], v[192:193]
	;; [unrolled: 1-line block ×3, first 2 shown]
	v_fma_f64 v[38:39], -0.5, v[24:25], v[6:7]
	v_add_f64 v[24:25], v[188:189], -v[46:47]
	v_fmac_f64_e32 v[44:45], s[12:13], v[28:29]
	v_fmac_f64_e32 v[4:5], s[12:13], v[28:29]
	v_fma_f64 v[50:51], s[14:15], v[24:25], v[38:39]
	v_add_f64 v[26:27], v[190:191], -v[194:195]
	v_add_f64 v[28:29], v[184:185], -v[186:187]
	v_add_f64 v[32:33], v[40:41], -v[192:193]
	v_fmac_f64_e32 v[38:39], s[8:9], v[24:25]
	v_fmac_f64_e32 v[50:51], s[16:17], v[26:27]
	v_add_f64 v[28:29], v[28:29], v[32:33]
	v_fmac_f64_e32 v[38:39], s[10:11], v[26:27]
	v_fmac_f64_e32 v[50:51], s[12:13], v[28:29]
	;; [unrolled: 1-line block ×3, first 2 shown]
	v_add_f64 v[28:29], v[184:185], v[40:41]
	v_fmac_f64_e32 v[6:7], -0.5, v[28:29]
	v_fma_f64 v[46:47], s[8:9], v[26:27], v[6:7]
	v_fmac_f64_e32 v[6:7], s[14:15], v[26:27]
	v_fmac_f64_e32 v[46:47], s[16:17], v[24:25]
	;; [unrolled: 1-line block ×3, first 2 shown]
	v_add_f64 v[24:25], v[0:1], v[200:201]
	v_add_f64 v[24:25], v[24:25], v[204:205]
	;; [unrolled: 1-line block ×3, first 2 shown]
	v_add_f64 v[28:29], v[186:187], -v[184:185]
	v_add_f64 v[32:33], v[192:193], -v[40:41]
	v_add_f64 v[40:41], v[24:25], v[30:31]
	v_add_f64 v[24:25], v[204:205], v[208:209]
	;; [unrolled: 1-line block ×3, first 2 shown]
	v_fma_f64 v[24:25], -0.5, v[24:25], v[0:1]
	v_add_f64 v[26:27], v[196:197], -v[206:207]
	v_fmac_f64_e32 v[46:47], s[12:13], v[28:29]
	v_fmac_f64_e32 v[6:7], s[12:13], v[28:29]
	v_fma_f64 v[32:33], s[8:9], v[26:27], v[24:25]
	v_add_f64 v[34:35], v[198:199], -v[202:203]
	v_add_f64 v[28:29], v[200:201], -v[204:205]
	;; [unrolled: 1-line block ×3, first 2 shown]
	v_fmac_f64_e32 v[24:25], s[14:15], v[26:27]
	v_fmac_f64_e32 v[32:33], s[10:11], v[34:35]
	v_add_f64 v[28:29], v[28:29], v[42:43]
	v_fmac_f64_e32 v[24:25], s[16:17], v[34:35]
	v_fmac_f64_e32 v[32:33], s[12:13], v[28:29]
	v_fmac_f64_e32 v[24:25], s[12:13], v[28:29]
	v_add_f64 v[28:29], v[200:201], v[30:31]
	v_fmac_f64_e32 v[0:1], -0.5, v[28:29]
	v_fma_f64 v[28:29], s[14:15], v[34:35], v[0:1]
	v_fmac_f64_e32 v[0:1], s[8:9], v[34:35]
	v_fmac_f64_e32 v[28:29], s[10:11], v[26:27]
	;; [unrolled: 1-line block ×3, first 2 shown]
	v_add_f64 v[26:27], v[2:3], v[196:197]
	v_add_f64 v[42:43], v[204:205], -v[200:201]
	v_add_f64 v[120:121], v[208:209], -v[30:31]
	v_add_f64 v[26:27], v[26:27], v[198:199]
	v_add_f64 v[42:43], v[42:43], v[120:121]
	;; [unrolled: 1-line block ×3, first 2 shown]
	v_fmac_f64_e32 v[28:29], s[12:13], v[42:43]
	v_fmac_f64_e32 v[0:1], s[12:13], v[42:43]
	v_add_f64 v[42:43], v[26:27], v[206:207]
	v_add_f64 v[26:27], v[198:199], v[202:203]
	v_fma_f64 v[26:27], -0.5, v[26:27], v[2:3]
	v_add_f64 v[120:121], v[200:201], -v[30:31]
	v_fma_f64 v[34:35], s[14:15], v[120:121], v[26:27]
	v_add_f64 v[122:123], v[204:205], -v[208:209]
	v_add_f64 v[30:31], v[196:197], -v[198:199]
	;; [unrolled: 1-line block ×3, first 2 shown]
	v_fmac_f64_e32 v[26:27], s[8:9], v[120:121]
	v_fmac_f64_e32 v[34:35], s[16:17], v[122:123]
	v_add_f64 v[30:31], v[30:31], v[124:125]
	v_fmac_f64_e32 v[26:27], s[10:11], v[122:123]
	v_fmac_f64_e32 v[34:35], s[12:13], v[30:31]
	;; [unrolled: 1-line block ×3, first 2 shown]
	v_add_f64 v[30:31], v[196:197], v[206:207]
	v_fmac_f64_e32 v[2:3], -0.5, v[30:31]
	v_fma_f64 v[30:31], s[8:9], v[122:123], v[2:3]
	v_fmac_f64_e32 v[2:3], s[14:15], v[122:123]
	v_fmac_f64_e32 v[30:31], s[16:17], v[120:121]
	;; [unrolled: 1-line block ×3, first 2 shown]
	v_mul_u32_u24_e32 v120, 50, v212
	v_add_lshl_u32 v120, v120, v213, 4
	ds_write_b128 v120, v[116:119]
	ds_write_b128 v120, v[108:111] offset:160
	scratch_store_dword off, v120, off      ; 4-byte Folded Spill
	ds_write_b128 v120, v[100:103] offset:320
	ds_write_b128 v120, v[20:23] offset:480
	;; [unrolled: 1-line block ×3, first 2 shown]
	v_mad_legacy_u16 v20, v210, 50, v211
	v_lshlrev_b32_e32 v20, 4, v20
	ds_write_b128 v20, v[112:115]
	ds_write_b128 v20, v[104:107] offset:160
	scratch_store_dword off, v20, off offset:4 ; 4-byte Folded Spill
	ds_write_b128 v20, v[96:99] offset:320
	ds_write_b128 v20, v[16:19] offset:480
	;; [unrolled: 1-line block ×3, first 2 shown]
	v_mad_legacy_u16 v16, v139, 50, v141
	v_lshlrev_b32_e32 v16, 4, v16
	v_mov_b32_e32 v120, 41
	ds_write_b128 v16, v[88:91]
	ds_write_b128 v16, v[80:83] offset:160
	scratch_store_dword off, v16, off offset:8 ; 4-byte Folded Spill
	ds_write_b128 v16, v[76:79] offset:320
	ds_write_b128 v16, v[12:15] offset:480
	;; [unrolled: 1-line block ×3, first 2 shown]
	v_mad_legacy_u16 v12, v143, 50, v147
	v_mul_lo_u16_sdwa v120, v224, v120 dst_sel:DWORD dst_unused:UNUSED_PAD src0_sel:BYTE_0 src1_sel:DWORD
	v_lshlrev_b32_e32 v12, 4, v12
	v_lshrrev_b16_e32 v229, 11, v120
	ds_write_b128 v12, v[72:75]
	ds_write_b128 v12, v[64:67] offset:160
	scratch_store_dword off, v12, off offset:12 ; 4-byte Folded Spill
	ds_write_b128 v12, v[60:63] offset:320
	ds_write_b128 v12, v[8:11] offset:480
	;; [unrolled: 1-line block ×3, first 2 shown]
	v_mad_legacy_u16 v8, v133, 50, v137
	v_mul_lo_u16_e32 v120, 50, v229
	v_add_f64 v[124:125], v[198:199], -v[196:197]
	v_add_f64 v[148:149], v[202:203], -v[206:207]
	v_lshlrev_b32_e32 v8, 4, v8
	v_sub_u16_e32 v120, v224, v120
	v_add_f64 v[124:125], v[124:125], v[148:149]
	ds_write_b128 v8, v[56:59]
	ds_write_b128 v8, v[48:51] offset:160
	scratch_store_dword off, v8, off offset:16 ; 4-byte Folded Spill
	ds_write_b128 v8, v[44:47] offset:320
	ds_write_b128 v8, v[4:7] offset:480
	;; [unrolled: 1-line block ×3, first 2 shown]
	v_mad_legacy_u16 v4, v128, 50, v129
	v_and_b32_e32 v230, 0xff, v120
	v_fmac_f64_e32 v[30:31], s[12:13], v[124:125]
	v_fmac_f64_e32 v[2:3], s[12:13], v[124:125]
	v_lshlrev_b32_e32 v133, 4, v4
	v_lshlrev_b32_e32 v120, 5, v230
	ds_write_b128 v133, v[40:43]
	ds_write_b128 v133, v[32:35] offset:160
	ds_write_b128 v133, v[28:31] offset:320
	;; [unrolled: 1-line block ×4, first 2 shown]
	s_waitcnt lgkmcnt(0)
	s_barrier
	ds_read_b128 v[36:39], v220
	ds_read_b128 v[116:119], v220 offset:21600
	ds_read_b128 v[112:115], v220 offset:43200
	;; [unrolled: 1-line block ×29, first 2 shown]
	global_load_dwordx4 v[148:151], v120, s[6:7] offset:656
	global_load_dwordx4 v[152:155], v120, s[6:7] offset:640
	v_lshrrev_b16_e32 v137, 1, v146
	v_lshrrev_b16_e32 v139, 1, v134
	;; [unrolled: 1-line block ×8, first 2 shown]
	s_waitcnt vmcnt(1)
	v_accvgpr_write_b32 a227, v151
	s_waitcnt vmcnt(0) lgkmcnt(14)
	v_mul_f64 v[120:121], v[118:119], v[154:155]
	v_fma_f64 v[120:121], v[116:117], v[152:153], -v[120:121]
	v_mul_f64 v[122:123], v[116:117], v[154:155]
	v_mul_f64 v[116:117], v[114:115], v[150:151]
	v_fma_f64 v[124:125], v[112:113], v[148:149], -v[116:117]
	v_mul_f64 v[112:113], v[112:113], v[150:151]
	v_fmac_f64_e32 v[112:113], v[114:115], v[148:149]
	v_lshrrev_b16_e32 v114, 1, v144
	v_mul_u32_u24_e32 v114, 0x147b, v114
	v_lshrrev_b32_e32 v227, 17, v114
	v_mul_lo_u16_e32 v114, 50, v227
	v_sub_u16_e32 v228, v144, v114
	v_lshlrev_b16_e32 v114, 5, v228
	v_mov_b32_e32 v115, v221
	v_accvgpr_write_b32 a223, v155
	v_lshl_add_u64 v[114:115], s[6:7], 0, v[114:115]
	v_fmac_f64_e32 v[122:123], v[118:119], v[152:153]
	v_accvgpr_write_b32 a222, v154
	v_accvgpr_write_b32 a221, v153
	;; [unrolled: 1-line block ×3, first 2 shown]
	global_load_dwordx4 v[116:119], v[114:115], off offset:656
	global_load_dwordx4 v[152:155], v[114:115], off offset:640
	v_accvgpr_write_b32 a226, v150
	v_accvgpr_write_b32 a225, v149
	;; [unrolled: 1-line block ×3, first 2 shown]
	s_waitcnt vmcnt(1)
	v_accvgpr_write_b32 a241, v119
	s_waitcnt vmcnt(0)
	v_mul_f64 v[114:115], v[110:111], v[154:155]
	v_fma_f64 v[148:149], v[108:109], v[152:153], -v[114:115]
	v_mul_f64 v[150:151], v[108:109], v[154:155]
	v_accvgpr_write_b32 a233, v155
	v_mul_f64 v[108:109], v[106:107], v[118:119]
	v_fmac_f64_e32 v[150:151], v[110:111], v[152:153]
	v_accvgpr_write_b32 a232, v154
	v_accvgpr_write_b32 a231, v153
	;; [unrolled: 1-line block ×3, first 2 shown]
	v_fma_f64 v[152:153], v[104:105], v[116:117], -v[108:109]
	v_mul_f64 v[154:155], v[104:105], v[118:119]
	v_mul_u32_u24_e32 v104, 0x147b, v137
	v_lshrrev_b32_e32 v223, 17, v104
	v_mul_lo_u16_e32 v104, 50, v223
	v_sub_u16_e32 v226, v146, v104
	v_lshlrev_b16_e32 v104, 5, v226
	v_mov_b32_e32 v105, v221
	v_lshl_add_u64 v[104:105], s[6:7], 0, v[104:105]
	v_fmac_f64_e32 v[154:155], v[106:107], v[116:117]
	v_accvgpr_write_b32 a240, v118
	v_accvgpr_write_b32 a239, v117
	;; [unrolled: 1-line block ×3, first 2 shown]
	global_load_dwordx4 v[106:109], v[104:105], off offset:656
	global_load_dwordx4 v[114:117], v[104:105], off offset:640
	s_waitcnt vmcnt(1)
	v_mul_f64 v[162:163], v[96:97], v[108:109]
	s_waitcnt vmcnt(0)
	v_mul_f64 v[104:105], v[102:103], v[116:117]
	v_fma_f64 v[156:157], v[100:101], v[114:115], -v[104:105]
	v_mul_f64 v[158:159], v[100:101], v[116:117]
	v_mul_f64 v[100:101], v[98:99], v[108:109]
	v_fma_f64 v[160:161], v[96:97], v[106:107], -v[100:101]
	v_mul_u32_u24_e32 v96, 0x147b, v139
	v_lshrrev_b32_e32 v217, 17, v96
	v_mul_lo_u16_e32 v96, 50, v217
	v_sub_u16_e32 v222, v134, v96
	v_lshlrev_b16_e32 v96, 5, v222
	v_mov_b32_e32 v97, v221
	v_lshl_add_u64 v[96:97], s[6:7], 0, v[96:97]
	v_fmac_f64_e32 v[158:159], v[102:103], v[114:115]
	v_fmac_f64_e32 v[162:163], v[98:99], v[106:107]
	global_load_dwordx4 v[98:101], v[96:97], off offset:656
	global_load_dwordx4 v[102:105], v[96:97], off offset:640
	v_accvgpr_write_b32 a245, v117
	v_accvgpr_write_b32 a244, v116
	v_accvgpr_write_b32 a243, v115
	v_accvgpr_write_b32 a242, v114
	v_accvgpr_write_b32 a249, v109
	v_accvgpr_write_b32 a248, v108
	v_accvgpr_write_b32 a247, v107
	v_accvgpr_write_b32 a246, v106
	s_waitcnt vmcnt(1)
	v_mul_f64 v[170:171], v[88:89], v[100:101]
	s_waitcnt vmcnt(0)
	v_mul_f64 v[96:97], v[94:95], v[104:105]
	v_fma_f64 v[164:165], v[92:93], v[102:103], -v[96:97]
	v_mul_f64 v[166:167], v[92:93], v[104:105]
	v_mul_f64 v[92:93], v[90:91], v[100:101]
	v_fma_f64 v[168:169], v[88:89], v[98:99], -v[92:93]
	v_mul_u32_u24_e32 v88, 0x147b, v141
	v_lshrrev_b32_e32 v215, 17, v88
	v_mul_lo_u16_e32 v88, 50, v215
	v_sub_u16_e32 v216, v138, v88
	v_lshlrev_b16_e32 v88, 5, v216
	v_mov_b32_e32 v89, v221
	v_lshl_add_u64 v[88:89], s[6:7], 0, v[88:89]
	v_fmac_f64_e32 v[166:167], v[94:95], v[102:103]
	v_fmac_f64_e32 v[170:171], v[90:91], v[98:99]
	global_load_dwordx4 v[90:93], v[88:89], off offset:656
	global_load_dwordx4 v[94:97], v[88:89], off offset:640
	v_accvgpr_write_b32 a253, v105
	v_accvgpr_write_b32 a252, v104
	v_accvgpr_write_b32 a251, v103
	v_accvgpr_write_b32 a250, v102
	v_accvgpr_write_b32 a237, v101
	v_accvgpr_write_b32 a236, v100
	v_accvgpr_write_b32 a235, v99
	v_accvgpr_write_b32 a234, v98
	;; [unrolled: 27-line block ×3, first 2 shown]
	s_waitcnt vmcnt(1) lgkmcnt(12)
	v_mul_f64 v[186:187], v[72:73], v[84:85]
	s_waitcnt vmcnt(0)
	v_mul_f64 v[80:81], v[78:79], v[88:89]
	v_fma_f64 v[180:181], v[76:77], v[86:87], -v[80:81]
	v_mul_f64 v[182:183], v[76:77], v[88:89]
	v_mul_f64 v[76:77], v[74:75], v[84:85]
	v_fma_f64 v[184:185], v[72:73], v[82:83], -v[76:77]
	v_mul_u32_u24_e32 v72, 0x147b, v147
	v_lshrrev_b32_e32 v209, 17, v72
	v_mul_lo_u16_e32 v72, 50, v209
	v_sub_u16_e32 v211, v218, v72
	v_lshlrev_b16_e32 v72, 5, v211
	v_mov_b32_e32 v73, v221
	v_lshl_add_u64 v[72:73], s[6:7], 0, v[72:73]
	v_fmac_f64_e32 v[182:183], v[78:79], v[86:87]
	v_fmac_f64_e32 v[186:187], v[74:75], v[82:83]
	global_load_dwordx4 v[74:77], v[72:73], off offset:656
	global_load_dwordx4 v[78:81], v[72:73], off offset:640
	v_accvgpr_write_b32 a195, v89
	v_accvgpr_write_b32 a194, v88
	v_accvgpr_write_b32 a193, v87
	v_accvgpr_write_b32 a192, v86
	v_accvgpr_write_b32 a191, v85
	v_accvgpr_write_b32 a190, v84
	v_accvgpr_write_b32 a189, v83
	v_accvgpr_write_b32 a188, v82
	s_waitcnt vmcnt(1) lgkmcnt(9)
	v_mul_f64 v[192:193], v[64:65], v[76:77]
	s_waitcnt vmcnt(0)
	v_mul_f64 v[72:73], v[70:71], v[80:81]
	v_fma_f64 v[188:189], v[68:69], v[78:79], -v[72:73]
	v_mul_f64 v[128:129], v[68:69], v[80:81]
	v_mul_f64 v[68:69], v[66:67], v[76:77]
	v_fma_f64 v[190:191], v[64:65], v[74:75], -v[68:69]
	v_mul_u32_u24_e32 v64, 0x147b, v202
	v_lshrrev_b32_e32 v210, 17, v64
	v_mul_lo_u16_e32 v64, 50, v210
	v_sub_u16_e32 v212, v136, v64
	v_lshlrev_b16_e32 v64, 5, v212
	v_mov_b32_e32 v65, v221
	v_lshl_add_u64 v[64:65], s[6:7], 0, v[64:65]
	v_fmac_f64_e32 v[128:129], v[70:71], v[78:79]
	v_fmac_f64_e32 v[192:193], v[66:67], v[74:75]
	global_load_dwordx4 v[66:69], v[64:65], off offset:656
	global_load_dwordx4 v[70:73], v[64:65], off offset:640
	v_accvgpr_write_b32 a187, v81
	v_accvgpr_write_b32 a186, v80
	v_accvgpr_write_b32 a185, v79
	v_accvgpr_write_b32 a184, v78
	v_accvgpr_write_b32 a183, v77
	v_accvgpr_write_b32 a182, v76
	v_accvgpr_write_b32 a181, v75
	v_accvgpr_write_b32 a180, v74
	;; [unrolled: 27-line block ×4, first 2 shown]
	s_waitcnt lgkmcnt(0)
	s_barrier
	s_waitcnt vmcnt(1)
	v_mul_f64 v[248:249], v[40:41], v[52:53]
	s_waitcnt vmcnt(0)
	v_mul_f64 v[48:49], v[46:47], v[56:57]
	v_fma_f64 v[242:243], v[44:45], v[54:55], -v[48:49]
	v_mul_f64 v[244:245], v[44:45], v[56:57]
	v_mul_f64 v[44:45], v[42:43], v[52:53]
	v_fma_f64 v[246:247], v[40:41], v[50:51], -v[44:45]
	v_add_f64 v[40:41], v[36:37], v[120:121]
	v_add_f64 v[116:117], v[40:41], v[124:125]
	v_add_f64 v[40:41], v[120:121], v[124:125]
	v_fmac_f64_e32 v[36:37], -0.5, v[40:41]
	v_add_f64 v[40:41], v[122:123], -v[112:113]
	v_fma_f64 v[108:109], s[2:3], v[40:41], v[36:37]
	v_fmac_f64_e32 v[36:37], s[4:5], v[40:41]
	v_add_f64 v[40:41], v[38:39], v[122:123]
	v_add_f64 v[118:119], v[40:41], v[112:113]
	v_add_f64 v[40:41], v[122:123], v[112:113]
	v_fmac_f64_e32 v[38:39], -0.5, v[40:41]
	v_add_f64 v[40:41], v[120:121], -v[124:125]
	v_fma_f64 v[110:111], s[4:5], v[40:41], v[38:39]
	v_fmac_f64_e32 v[38:39], s[2:3], v[40:41]
	v_add_f64 v[40:41], v[32:33], v[148:149]
	v_add_f64 v[112:113], v[40:41], v[152:153]
	v_add_f64 v[40:41], v[148:149], v[152:153]
	v_fmac_f64_e32 v[32:33], -0.5, v[40:41]
	v_add_f64 v[40:41], v[150:151], -v[154:155]
	v_fma_f64 v[104:105], s[2:3], v[40:41], v[32:33]
	v_fmac_f64_e32 v[32:33], s[4:5], v[40:41]
	v_add_f64 v[40:41], v[34:35], v[150:151]
	v_add_f64 v[114:115], v[40:41], v[154:155]
	v_add_f64 v[40:41], v[150:151], v[154:155]
	v_fmac_f64_e32 v[34:35], -0.5, v[40:41]
	v_add_f64 v[40:41], v[148:149], -v[152:153]
	v_fma_f64 v[106:107], s[4:5], v[40:41], v[34:35]
	v_fmac_f64_e32 v[34:35], s[2:3], v[40:41]
	v_add_f64 v[40:41], v[28:29], v[156:157]
	v_add_f64 v[100:101], v[40:41], v[160:161]
	v_add_f64 v[40:41], v[156:157], v[160:161]
	v_fmac_f64_e32 v[28:29], -0.5, v[40:41]
	v_add_f64 v[40:41], v[158:159], -v[162:163]
	v_fma_f64 v[96:97], s[2:3], v[40:41], v[28:29]
	v_fmac_f64_e32 v[28:29], s[4:5], v[40:41]
	v_add_f64 v[40:41], v[30:31], v[158:159]
	v_add_f64 v[102:103], v[40:41], v[162:163]
	v_add_f64 v[40:41], v[158:159], v[162:163]
	v_fmac_f64_e32 v[30:31], -0.5, v[40:41]
	v_add_f64 v[40:41], v[156:157], -v[160:161]
	v_fma_f64 v[98:99], s[4:5], v[40:41], v[30:31]
	v_fmac_f64_e32 v[30:31], s[2:3], v[40:41]
	v_add_f64 v[40:41], v[24:25], v[164:165]
	v_add_f64 v[92:93], v[40:41], v[168:169]
	v_add_f64 v[40:41], v[164:165], v[168:169]
	v_fmac_f64_e32 v[24:25], -0.5, v[40:41]
	v_add_f64 v[40:41], v[166:167], -v[170:171]
	v_fma_f64 v[88:89], s[2:3], v[40:41], v[24:25]
	v_fmac_f64_e32 v[24:25], s[4:5], v[40:41]
	v_add_f64 v[40:41], v[26:27], v[166:167]
	v_add_f64 v[94:95], v[40:41], v[170:171]
	v_add_f64 v[40:41], v[166:167], v[170:171]
	v_fmac_f64_e32 v[26:27], -0.5, v[40:41]
	v_add_f64 v[40:41], v[164:165], -v[168:169]
	v_fma_f64 v[90:91], s[4:5], v[40:41], v[26:27]
	v_fmac_f64_e32 v[26:27], s[2:3], v[40:41]
	v_add_f64 v[40:41], v[20:21], v[172:173]
	v_add_f64 v[84:85], v[40:41], v[176:177]
	v_add_f64 v[40:41], v[172:173], v[176:177]
	v_fmac_f64_e32 v[20:21], -0.5, v[40:41]
	v_add_f64 v[40:41], v[174:175], -v[178:179]
	v_fma_f64 v[80:81], s[2:3], v[40:41], v[20:21]
	v_fmac_f64_e32 v[20:21], s[4:5], v[40:41]
	v_add_f64 v[40:41], v[22:23], v[174:175]
	v_add_f64 v[86:87], v[40:41], v[178:179]
	v_add_f64 v[40:41], v[174:175], v[178:179]
	v_fmac_f64_e32 v[22:23], -0.5, v[40:41]
	v_add_f64 v[40:41], v[172:173], -v[176:177]
	v_fma_f64 v[82:83], s[4:5], v[40:41], v[22:23]
	v_fmac_f64_e32 v[22:23], s[2:3], v[40:41]
	v_add_f64 v[40:41], v[16:17], v[180:181]
	v_add_f64 v[76:77], v[40:41], v[184:185]
	v_add_f64 v[40:41], v[180:181], v[184:185]
	v_fmac_f64_e32 v[16:17], -0.5, v[40:41]
	v_add_f64 v[40:41], v[182:183], -v[186:187]
	v_fma_f64 v[72:73], s[2:3], v[40:41], v[16:17]
	v_fmac_f64_e32 v[16:17], s[4:5], v[40:41]
	v_add_f64 v[40:41], v[18:19], v[182:183]
	v_add_f64 v[78:79], v[40:41], v[186:187]
	v_add_f64 v[40:41], v[182:183], v[186:187]
	v_fmac_f64_e32 v[18:19], -0.5, v[40:41]
	v_add_f64 v[40:41], v[180:181], -v[184:185]
	v_fma_f64 v[74:75], s[4:5], v[40:41], v[18:19]
	v_fmac_f64_e32 v[18:19], s[2:3], v[40:41]
	v_add_f64 v[40:41], v[12:13], v[188:189]
	v_add_f64 v[68:69], v[40:41], v[190:191]
	v_add_f64 v[40:41], v[188:189], v[190:191]
	v_fmac_f64_e32 v[12:13], -0.5, v[40:41]
	v_add_f64 v[40:41], v[128:129], -v[192:193]
	v_fma_f64 v[64:65], s[2:3], v[40:41], v[12:13]
	v_fmac_f64_e32 v[12:13], s[4:5], v[40:41]
	v_add_f64 v[40:41], v[14:15], v[128:129]
	v_add_f64 v[70:71], v[40:41], v[192:193]
	v_add_f64 v[40:41], v[128:129], v[192:193]
	v_fmac_f64_e32 v[14:15], -0.5, v[40:41]
	v_add_f64 v[40:41], v[188:189], -v[190:191]
	v_fma_f64 v[66:67], s[4:5], v[40:41], v[14:15]
	v_fmac_f64_e32 v[14:15], s[2:3], v[40:41]
	v_add_f64 v[40:41], v[8:9], v[194:195]
	v_add_f64 v[60:61], v[40:41], v[198:199]
	;; [unrolled: 1-line block ×3, first 2 shown]
	v_accvgpr_write_b32 a163, v57
	v_fmac_f64_e32 v[8:9], -0.5, v[40:41]
	v_add_f64 v[40:41], v[196:197], -v[200:201]
	v_accvgpr_write_b32 a162, v56
	v_accvgpr_write_b32 a161, v55
	;; [unrolled: 1-line block ×3, first 2 shown]
	v_fma_f64 v[56:57], s[2:3], v[40:41], v[8:9]
	v_fmac_f64_e32 v[8:9], s[4:5], v[40:41]
	v_add_f64 v[40:41], v[10:11], v[196:197]
	v_add_f64 v[62:63], v[40:41], v[200:201]
	;; [unrolled: 1-line block ×3, first 2 shown]
	v_fmac_f64_e32 v[10:11], -0.5, v[40:41]
	v_add_f64 v[40:41], v[194:195], -v[198:199]
	v_accvgpr_write_b32 a159, v53
	v_fma_f64 v[58:59], s[4:5], v[40:41], v[10:11]
	v_fmac_f64_e32 v[10:11], s[2:3], v[40:41]
	v_add_f64 v[40:41], v[4:5], v[232:233]
	v_accvgpr_write_b32 a158, v52
	v_accvgpr_write_b32 a157, v51
	;; [unrolled: 1-line block ×3, first 2 shown]
	v_add_f64 v[52:53], v[40:41], v[236:237]
	v_add_f64 v[40:41], v[232:233], v[236:237]
	v_fmac_f64_e32 v[4:5], -0.5, v[40:41]
	v_add_f64 v[40:41], v[234:235], -v[240:241]
	v_fma_f64 v[48:49], s[2:3], v[40:41], v[4:5]
	v_fmac_f64_e32 v[4:5], s[4:5], v[40:41]
	v_add_f64 v[40:41], v[6:7], v[234:235]
	v_fmac_f64_e32 v[244:245], v[46:47], v[54:55]
	v_add_f64 v[54:55], v[40:41], v[240:241]
	v_add_f64 v[40:41], v[234:235], v[240:241]
	v_fmac_f64_e32 v[6:7], -0.5, v[40:41]
	v_add_f64 v[40:41], v[232:233], -v[236:237]
	v_fmac_f64_e32 v[248:249], v[42:43], v[50:51]
	v_fma_f64 v[50:51], s[4:5], v[40:41], v[6:7]
	v_fmac_f64_e32 v[6:7], s[2:3], v[40:41]
	v_add_f64 v[40:41], v[0:1], v[242:243]
	v_add_f64 v[44:45], v[40:41], v[246:247]
	;; [unrolled: 1-line block ×3, first 2 shown]
	v_fmac_f64_e32 v[0:1], -0.5, v[40:41]
	v_add_f64 v[42:43], v[244:245], -v[248:249]
	v_fma_f64 v[40:41], s[2:3], v[42:43], v[0:1]
	v_fmac_f64_e32 v[0:1], s[4:5], v[42:43]
	v_add_f64 v[42:43], v[2:3], v[244:245]
	v_add_f64 v[46:47], v[42:43], v[248:249]
	;; [unrolled: 1-line block ×3, first 2 shown]
	v_fmac_f64_e32 v[2:3], -0.5, v[42:43]
	v_add_f64 v[120:121], v[242:243], -v[246:247]
	v_fma_f64 v[42:43], s[4:5], v[120:121], v[2:3]
	v_fmac_f64_e32 v[2:3], s[2:3], v[120:121]
	v_mul_u32_u24_e32 v120, 0x96, v229
	v_add_lshl_u32 v120, v120, v230, 4
	ds_write_b128 v120, v[116:119]
	scratch_store_dword off, v120, off offset:196 ; 4-byte Folded Spill
	ds_write_b128 v120, v[108:111] offset:800
	ds_write_b128 v120, v[36:39] offset:1600
	v_mad_legacy_u16 v36, v227, s24, v228
	v_lshlrev_b32_e32 v36, 4, v36
	ds_write_b128 v36, v[112:115]
	scratch_store_dword off, v36, off offset:216 ; 4-byte Folded Spill
	ds_write_b128 v36, v[104:107] offset:800
	ds_write_b128 v36, v[32:35] offset:1600
	v_mad_legacy_u16 v32, v223, s24, v226
	v_lshlrev_b32_e32 v32, 4, v32
	;; [unrolled: 6-line block ×9, first 2 shown]
	v_lshlrev_b32_e32 v120, 5, v224
	ds_write_b128 v4, v[44:47]
	scratch_store_dword off, v4, off offset:248 ; 4-byte Folded Spill
	ds_write_b128 v4, v[40:43] offset:800
	ds_write_b128 v4, v[0:3] offset:1600
	s_waitcnt lgkmcnt(0)
	s_barrier
	ds_read_b128 v[36:39], v220
	ds_read_b128 v[116:119], v220 offset:21600
	ds_read_b128 v[112:115], v220 offset:43200
	ds_read_b128 v[32:35], v220 offset:2160
	ds_read_b128 v[108:111], v220 offset:23760
	ds_read_b128 v[104:107], v220 offset:45360
	ds_read_b128 v[28:31], v220 offset:4320
	ds_read_b128 v[100:103], v220 offset:25920
	ds_read_b128 v[96:99], v220 offset:47520
	ds_read_b128 v[24:27], v220 offset:6480
	ds_read_b128 v[92:95], v220 offset:28080
	ds_read_b128 v[88:91], v220 offset:49680
	ds_read_b128 v[20:23], v220 offset:8640
	ds_read_b128 v[84:87], v220 offset:30240
	ds_read_b128 v[80:83], v220 offset:51840
	ds_read_b128 v[16:19], v220 offset:10800
	ds_read_b128 v[76:79], v220 offset:32400
	ds_read_b128 v[72:75], v220 offset:54000
	ds_read_b128 v[12:15], v220 offset:12960
	ds_read_b128 v[68:71], v220 offset:34560
	ds_read_b128 v[64:67], v220 offset:56160
	ds_read_b128 v[8:11], v220 offset:15120
	ds_read_b128 v[60:63], v220 offset:36720
	ds_read_b128 v[56:59], v220 offset:58320
	ds_read_b128 v[4:7], v220 offset:17280
	ds_read_b128 v[52:55], v220 offset:38880
	ds_read_b128 v[48:51], v220 offset:60480
	ds_read_b128 v[0:3], v220 offset:19440
	ds_read_b128 v[44:47], v220 offset:41040
	ds_read_b128 v[40:43], v220 offset:62640
	global_load_dwordx4 v[150:153], v120, s[6:7] offset:2256
	global_load_dwordx4 v[154:157], v120, s[6:7] offset:2240
	v_mov_b32_e32 v121, v221
	v_lshl_add_u64 v[176:177], s[6:7], 0, v[120:121]
	s_mov_b64 s[24:25], 0x1b80
	s_waitcnt vmcnt(0) lgkmcnt(14)
	v_mul_f64 v[120:121], v[118:119], v[156:157]
	v_mul_f64 v[148:149], v[116:117], v[156:157]
	v_fma_f64 v[124:125], v[116:117], v[154:155], -v[120:121]
	v_fmac_f64_e32 v[148:149], v[118:119], v[154:155]
	v_mov_b64_e32 v[118:119], v[150:151]
	v_mov_b64_e32 v[120:121], v[152:153]
	v_mul_f64 v[116:117], v[114:115], v[120:121]
	v_fma_f64 v[150:151], v[112:113], v[118:119], -v[116:117]
	v_mul_f64 v[152:153], v[112:113], v[120:121]
	v_lshl_add_u64 v[112:113], v[224:225], 0, -15
	v_cndmask_b32_e32 v123, v113, v145, vcc
	v_cndmask_b32_e32 v122, v112, v144, vcc
	v_lshlrev_b64 v[112:113], 5, v[122:123]
	v_accvgpr_write_b32 a151, v121
	v_lshl_add_u64 v[112:113], s[6:7], 0, v[112:113]
	v_fmac_f64_e32 v[152:153], v[114:115], v[118:119]
	v_accvgpr_write_b32 a150, v120
	v_accvgpr_write_b32 a149, v119
	;; [unrolled: 1-line block ×3, first 2 shown]
	global_load_dwordx4 v[114:117], v[112:113], off offset:2256
	global_load_dwordx4 v[118:121], v[112:113], off offset:2240
	v_accvgpr_write_b32 a152, v154
	v_accvgpr_write_b32 a153, v155
	;; [unrolled: 1-line block ×4, first 2 shown]
	v_cmp_lt_u16_e32 vcc, 14, v224
	s_waitcnt vmcnt(1)
	v_mul_f64 v[160:161], v[104:105], v[116:117]
	s_waitcnt vmcnt(0)
	v_mul_f64 v[112:113], v[110:111], v[120:121]
	v_fma_f64 v[154:155], v[108:109], v[118:119], -v[112:113]
	v_mul_f64 v[156:157], v[108:109], v[120:121]
	v_mul_f64 v[108:109], v[106:107], v[116:117]
	v_fma_f64 v[158:159], v[104:105], v[114:115], -v[108:109]
	v_mul_u32_u24_e32 v104, 0xda75, v137
	v_lshrrev_b32_e32 v209, 22, v104
	v_mul_lo_u16_e32 v104, 0x96, v209
	v_sub_u16_e32 v210, v146, v104
	v_lshlrev_b16_e32 v104, 5, v210
	v_mov_b32_e32 v105, v221
	v_lshl_add_u64 v[104:105], s[6:7], 0, v[104:105]
	v_fmac_f64_e32 v[156:157], v[110:111], v[118:119]
	v_fmac_f64_e32 v[160:161], v[106:107], v[114:115]
	global_load_dwordx4 v[106:109], v[104:105], off offset:2256
	global_load_dwordx4 v[110:113], v[104:105], off offset:2240
	v_accvgpr_write_b32 a147, v121
	v_accvgpr_write_b32 a146, v120
	v_accvgpr_write_b32 a145, v119
	v_accvgpr_write_b32 a144, v118
	v_accvgpr_write_b32 a143, v117
	v_accvgpr_write_b32 a142, v116
	v_accvgpr_write_b32 a141, v115
	v_accvgpr_write_b32 a140, v114
	s_waitcnt vmcnt(1)
	v_mul_f64 v[168:169], v[96:97], v[108:109]
	s_waitcnt vmcnt(0)
	v_mul_f64 v[104:105], v[102:103], v[112:113]
	v_fma_f64 v[162:163], v[100:101], v[110:111], -v[104:105]
	v_mul_f64 v[164:165], v[100:101], v[112:113]
	v_mul_f64 v[100:101], v[98:99], v[108:109]
	v_fma_f64 v[166:167], v[96:97], v[106:107], -v[100:101]
	v_mul_u32_u24_e32 v96, 0xda75, v139
	v_lshrrev_b32_e32 v207, 22, v96
	v_mul_lo_u16_e32 v96, 0x96, v207
	v_sub_u16_e32 v208, v134, v96
	v_lshlrev_b16_e32 v96, 5, v208
	v_mov_b32_e32 v97, v221
	v_lshl_add_u64 v[96:97], s[6:7], 0, v[96:97]
	v_fmac_f64_e32 v[164:165], v[102:103], v[110:111]
	v_fmac_f64_e32 v[168:169], v[98:99], v[106:107]
	global_load_dwordx4 v[98:101], v[96:97], off offset:2256
	global_load_dwordx4 v[102:105], v[96:97], off offset:2240
	v_accvgpr_write_b32 a139, v113
	v_accvgpr_write_b32 a138, v112
	v_accvgpr_write_b32 a137, v111
	v_accvgpr_write_b32 a136, v110
	v_accvgpr_write_b32 a135, v109
	v_accvgpr_write_b32 a134, v108
	v_accvgpr_write_b32 a133, v107
	v_accvgpr_write_b32 a132, v106
	;; [unrolled: 27-line block ×4, first 2 shown]
	s_waitcnt vmcnt(1) lgkmcnt(12)
	v_mul_f64 v[190:191], v[72:73], v[84:85]
	s_waitcnt vmcnt(0)
	v_mul_f64 v[80:81], v[78:79], v[88:89]
	v_fma_f64 v[128:129], v[76:77], v[86:87], -v[80:81]
	v_mul_f64 v[186:187], v[76:77], v[88:89]
	v_mul_f64 v[76:77], v[74:75], v[84:85]
	v_fma_f64 v[188:189], v[72:73], v[82:83], -v[76:77]
	v_mul_u32_u24_e32 v72, 0xda75, v147
	v_lshrrev_b32_e32 v145, 22, v72
	v_mul_lo_u16_e32 v72, 0x96, v145
	v_sub_u16_e32 v147, v218, v72
	v_lshlrev_b16_e32 v72, 5, v147
	v_mov_b32_e32 v73, v221
	v_lshl_add_u64 v[72:73], s[6:7], 0, v[72:73]
	v_fmac_f64_e32 v[186:187], v[78:79], v[86:87]
	v_fmac_f64_e32 v[190:191], v[74:75], v[82:83]
	global_load_dwordx4 v[74:77], v[72:73], off offset:2256
	global_load_dwordx4 v[78:81], v[72:73], off offset:2240
	v_accvgpr_write_b32 a115, v89
	v_accvgpr_write_b32 a114, v88
	v_accvgpr_write_b32 a113, v87
	v_accvgpr_write_b32 a112, v86
	v_accvgpr_write_b32 a111, v85
	v_accvgpr_write_b32 a110, v84
	v_accvgpr_write_b32 a109, v83
	v_accvgpr_write_b32 a108, v82
	s_waitcnt vmcnt(1) lgkmcnt(9)
	v_mul_f64 v[198:199], v[64:65], v[76:77]
	s_waitcnt vmcnt(0)
	v_mul_f64 v[72:73], v[70:71], v[80:81]
	v_fma_f64 v[192:193], v[68:69], v[78:79], -v[72:73]
	v_mul_f64 v[194:195], v[68:69], v[80:81]
	v_mul_f64 v[68:69], v[66:67], v[76:77]
	v_fma_f64 v[196:197], v[64:65], v[74:75], -v[68:69]
	v_mul_u32_u24_e32 v64, 0xda75, v202
	v_lshrrev_b32_e32 v141, 22, v64
	v_mul_lo_u16_e32 v64, 0x96, v141
	v_sub_u16_e32 v143, v136, v64
	v_lshlrev_b16_e32 v64, 5, v143
	v_mov_b32_e32 v65, v221
	v_lshl_add_u64 v[64:65], s[6:7], 0, v[64:65]
	v_fmac_f64_e32 v[194:195], v[70:71], v[78:79]
	v_fmac_f64_e32 v[198:199], v[66:67], v[74:75]
	global_load_dwordx4 v[66:69], v[64:65], off offset:2256
	global_load_dwordx4 v[70:73], v[64:65], off offset:2240
	v_accvgpr_write_b32 a107, v81
	v_accvgpr_write_b32 a106, v80
	v_accvgpr_write_b32 a105, v79
	v_accvgpr_write_b32 a104, v78
	v_accvgpr_write_b32 a103, v77
	v_accvgpr_write_b32 a102, v76
	v_accvgpr_write_b32 a101, v75
	v_accvgpr_write_b32 a100, v74
	;; [unrolled: 27-line block ×4, first 2 shown]
	s_waitcnt lgkmcnt(0)
	s_barrier
	s_waitcnt vmcnt(1)
	v_mul_f64 v[240:241], v[40:41], v[52:53]
	s_waitcnt vmcnt(0)
	v_mul_f64 v[48:49], v[46:47], v[56:57]
	v_fma_f64 v[232:233], v[44:45], v[54:55], -v[48:49]
	v_mul_f64 v[234:235], v[44:45], v[56:57]
	v_mul_f64 v[44:45], v[42:43], v[52:53]
	v_fma_f64 v[236:237], v[40:41], v[50:51], -v[44:45]
	v_add_f64 v[40:41], v[36:37], v[124:125]
	v_add_f64 v[116:117], v[40:41], v[150:151]
	v_add_f64 v[40:41], v[124:125], v[150:151]
	v_fmac_f64_e32 v[36:37], -0.5, v[40:41]
	v_add_f64 v[40:41], v[148:149], -v[152:153]
	v_fma_f64 v[112:113], s[2:3], v[40:41], v[36:37]
	v_fmac_f64_e32 v[36:37], s[4:5], v[40:41]
	v_add_f64 v[40:41], v[38:39], v[148:149]
	v_add_f64 v[118:119], v[40:41], v[152:153]
	v_add_f64 v[40:41], v[148:149], v[152:153]
	v_fmac_f64_e32 v[38:39], -0.5, v[40:41]
	v_add_f64 v[40:41], v[124:125], -v[150:151]
	v_fma_f64 v[114:115], s[4:5], v[40:41], v[38:39]
	v_fmac_f64_e32 v[38:39], s[2:3], v[40:41]
	;; [unrolled: 7-line block ×14, first 2 shown]
	v_add_f64 v[40:41], v[8:9], v[212:213]
	v_add_f64 v[60:61], v[40:41], v[216:217]
	;; [unrolled: 1-line block ×3, first 2 shown]
	ds_write_b128 v220, v[116:119]
	ds_write_b128 v220, v[112:115] offset:2400
	ds_write_b128 v220, v[36:39] offset:4800
	v_mov_b32_e32 v36, 0x1c2
	v_accvgpr_write_b32 a83, v57
	v_fmac_f64_e32 v[8:9], -0.5, v[40:41]
	v_add_f64 v[40:41], v[214:215], -v[222:223]
	v_cndmask_b32_e32 v36, 0, v36, vcc
	v_accvgpr_write_b32 a82, v56
	v_accvgpr_write_b32 a81, v55
	;; [unrolled: 1-line block ×3, first 2 shown]
	v_fma_f64 v[56:57], s[2:3], v[40:41], v[8:9]
	v_fmac_f64_e32 v[8:9], s[4:5], v[40:41]
	v_add_f64 v[40:41], v[10:11], v[214:215]
	v_add_lshl_u32 v36, v122, v36, 4
	v_add_f64 v[62:63], v[40:41], v[222:223]
	v_add_f64 v[40:41], v[214:215], v[222:223]
	ds_write_b128 v36, v[108:111]
	scratch_store_dword off, v36, off offset:572 ; 4-byte Folded Spill
	ds_write_b128 v36, v[104:107] offset:2400
	ds_write_b128 v36, v[32:35] offset:4800
	v_mad_legacy_u16 v32, v209, s30, v210
	v_fmac_f64_e32 v[10:11], -0.5, v[40:41]
	v_add_f64 v[40:41], v[212:213], -v[216:217]
	v_lshlrev_b32_e32 v32, 4, v32
	v_accvgpr_write_b32 a79, v53
	v_fma_f64 v[58:59], s[4:5], v[40:41], v[10:11]
	v_fmac_f64_e32 v[10:11], s[2:3], v[40:41]
	v_add_f64 v[40:41], v[4:5], v[202:203]
	ds_write_b128 v32, v[100:103]
	scratch_store_dword off, v32, off offset:576 ; 4-byte Folded Spill
	ds_write_b128 v32, v[96:99] offset:2400
	ds_write_b128 v32, v[28:31] offset:4800
	v_mad_legacy_u16 v28, v207, s30, v208
	v_accvgpr_write_b32 a78, v52
	v_accvgpr_write_b32 a77, v51
	;; [unrolled: 1-line block ×3, first 2 shown]
	v_add_f64 v[52:53], v[40:41], v[228:229]
	v_add_f64 v[40:41], v[202:203], v[228:229]
	v_lshlrev_b32_e32 v28, 4, v28
	v_fmac_f64_e32 v[4:5], -0.5, v[40:41]
	v_add_f64 v[40:41], v[226:227], -v[230:231]
	ds_write_b128 v28, v[92:95]
	scratch_store_dword off, v28, off offset:580 ; 4-byte Folded Spill
	ds_write_b128 v28, v[88:91] offset:2400
	ds_write_b128 v28, v[24:27] offset:4800
	v_mad_legacy_u16 v24, v205, s30, v206
	v_fma_f64 v[48:49], s[2:3], v[40:41], v[4:5]
	v_fmac_f64_e32 v[4:5], s[4:5], v[40:41]
	v_add_f64 v[40:41], v[6:7], v[226:227]
	v_lshlrev_b32_e32 v24, 4, v24
	v_fmac_f64_e32 v[234:235], v[46:47], v[54:55]
	v_add_f64 v[54:55], v[40:41], v[230:231]
	v_add_f64 v[40:41], v[226:227], v[230:231]
	ds_write_b128 v24, v[84:87]
	scratch_store_dword off, v24, off offset:584 ; 4-byte Folded Spill
	ds_write_b128 v24, v[80:83] offset:2400
	ds_write_b128 v24, v[20:23] offset:4800
	v_mad_legacy_u16 v20, v200, s30, v201
	v_fmac_f64_e32 v[6:7], -0.5, v[40:41]
	v_add_f64 v[40:41], v[202:203], -v[228:229]
	v_lshlrev_b32_e32 v20, 4, v20
	v_fmac_f64_e32 v[240:241], v[42:43], v[50:51]
	v_fma_f64 v[50:51], s[4:5], v[40:41], v[6:7]
	v_fmac_f64_e32 v[6:7], s[2:3], v[40:41]
	v_add_f64 v[40:41], v[0:1], v[232:233]
	ds_write_b128 v20, v[76:79]
	scratch_store_dword off, v20, off offset:588 ; 4-byte Folded Spill
	ds_write_b128 v20, v[72:75] offset:2400
	ds_write_b128 v20, v[16:19] offset:4800
	v_mad_legacy_u16 v16, v145, s30, v147
	v_add_f64 v[44:45], v[40:41], v[236:237]
	v_add_f64 v[40:41], v[232:233], v[236:237]
	v_lshlrev_b32_e32 v16, 4, v16
	v_fmac_f64_e32 v[0:1], -0.5, v[40:41]
	v_add_f64 v[42:43], v[234:235], -v[240:241]
	ds_write_b128 v16, v[68:71]
	scratch_store_dword off, v16, off offset:592 ; 4-byte Folded Spill
	ds_write_b128 v16, v[64:67] offset:2400
	ds_write_b128 v16, v[12:15] offset:4800
	v_mad_legacy_u16 v12, v141, s30, v143
	v_fma_f64 v[40:41], s[2:3], v[42:43], v[0:1]
	v_fmac_f64_e32 v[0:1], s[4:5], v[42:43]
	v_add_f64 v[42:43], v[2:3], v[234:235]
	v_lshlrev_b32_e32 v12, 4, v12
	v_add_f64 v[46:47], v[42:43], v[240:241]
	v_add_f64 v[42:43], v[234:235], v[240:241]
	ds_write_b128 v12, v[60:63]
	scratch_store_dword off, v12, off offset:596 ; 4-byte Folded Spill
	ds_write_b128 v12, v[56:59] offset:2400
	ds_write_b128 v12, v[8:11] offset:4800
	v_mad_legacy_u16 v8, v137, s30, v139
	v_fmac_f64_e32 v[2:3], -0.5, v[42:43]
	v_add_f64 v[120:121], v[232:233], -v[236:237]
	v_lshlrev_b32_e32 v8, 4, v8
	v_add_co_u32_e32 v122, vcc, s27, v176
	v_fma_f64 v[42:43], s[4:5], v[120:121], v[2:3]
	v_fmac_f64_e32 v[2:3], s[2:3], v[120:121]
	ds_write_b128 v8, v[52:55]
	scratch_store_dword off, v8, off offset:600 ; 4-byte Folded Spill
	ds_write_b128 v8, v[48:51] offset:2400
	ds_write_b128 v8, v[4:7] offset:4800
	v_lshlrev_b32_e32 v4, 4, v123
	v_addc_co_u32_e32 v123, vcc, 0, v177, vcc
	ds_write_b128 v4, v[44:47] offset:57600
	scratch_store_dword off, v4, off offset:604 ; 4-byte Folded Spill
	ds_write_b128 v4, v[40:43] offset:60000
	ds_write_b128 v4, v[0:3] offset:62400
	s_waitcnt lgkmcnt(0)
	s_barrier
	ds_read_b128 v[36:39], v220
	ds_read_b128 v[116:119], v220 offset:21600
	ds_read_b128 v[112:115], v220 offset:43200
	;; [unrolled: 1-line block ×29, first 2 shown]
	v_lshl_add_u64 v[120:121], v[176:177], 0, s[24:25]
	global_load_dwordx4 v[150:153], v[122:123], off offset:2944
	s_nop 0
	global_load_dwordx4 v[122:125], v[120:121], off offset:16
	s_waitcnt vmcnt(1) lgkmcnt(14)
	v_mul_f64 v[120:121], v[118:119], v[152:153]
	v_mov_b64_e32 v[154:155], v[152:153]
	v_mov_b64_e32 v[152:153], v[150:151]
	v_fma_f64 v[148:149], v[116:117], v[150:151], -v[120:121]
	v_mul_f64 v[150:151], v[116:117], v[154:155]
	v_accvgpr_write_b32 a72, v152
	s_waitcnt vmcnt(0)
	v_mul_f64 v[116:117], v[114:115], v[124:125]
	v_fmac_f64_e32 v[150:151], v[118:119], v[152:153]
	v_accvgpr_write_b32 a73, v153
	v_accvgpr_write_b32 a74, v154
	;; [unrolled: 1-line block ×3, first 2 shown]
	v_fma_f64 v[152:153], v[112:113], v[122:123], -v[116:117]
	v_mul_f64 v[112:113], v[112:113], v[124:125]
	v_fmac_f64_e32 v[112:113], v[114:115], v[122:123]
	v_lshlrev_b32_e32 v114, 5, v144
	v_mov_b32_e32 v115, v221
	v_lshl_add_u64 v[178:179], s[6:7], 0, v[114:115]
	v_add_co_u32_e32 v116, vcc, s27, v178
	v_accvgpr_write_b32 a68, v122
	s_nop 0
	v_addc_co_u32_e32 v117, vcc, 0, v179, vcc
	v_accvgpr_write_b32 a69, v123
	v_accvgpr_write_b32 a70, v124
	v_accvgpr_write_b32 a71, v125
	v_lshl_add_u64 v[114:115], v[178:179], 0, s[24:25]
	global_load_dwordx4 v[120:123], v[116:117], off offset:2944
	s_nop 0
	global_load_dwordx4 v[116:119], v[114:115], off offset:16
	s_waitcnt vmcnt(1)
	v_mul_f64 v[114:115], v[110:111], v[122:123]
	v_fma_f64 v[154:155], v[108:109], v[120:121], -v[114:115]
	v_mul_f64 v[156:157], v[108:109], v[122:123]
	s_waitcnt vmcnt(0)
	v_mul_f64 v[108:109], v[106:107], v[118:119]
	v_fma_f64 v[158:159], v[104:105], v[116:117], -v[108:109]
	v_mul_f64 v[160:161], v[104:105], v[118:119]
	v_lshlrev_b32_e32 v104, 5, v146
	v_mov_b32_e32 v105, v221
	v_lshl_add_u64 v[124:125], s[6:7], 0, v[104:105]
	v_fmac_f64_e32 v[160:161], v[106:107], v[116:117]
	v_add_co_u32_e32 v106, vcc, s27, v124
	v_accvgpr_write_b32 a60, v116
	s_nop 0
	v_addc_co_u32_e32 v107, vcc, 0, v125, vcc
	v_accvgpr_write_b32 a61, v117
	v_accvgpr_write_b32 a62, v118
	;; [unrolled: 1-line block ×3, first 2 shown]
	v_lshl_add_u64 v[104:105], v[124:125], 0, s[24:25]
	global_load_dwordx4 v[114:117], v[106:107], off offset:2944
	s_nop 0
	global_load_dwordx4 v[106:109], v[104:105], off offset:16
	v_cmp_gt_u16_e32 vcc, 45, v224
	v_accvgpr_write_b32 a64, v120
	v_fmac_f64_e32 v[156:157], v[110:111], v[120:121]
	v_accvgpr_write_b32 a65, v121
	v_accvgpr_write_b32 a66, v122
	v_accvgpr_write_b32 a67, v123
	s_waitcnt vmcnt(1)
	v_mul_f64 v[104:105], v[102:103], v[116:117]
	v_fma_f64 v[146:147], v[100:101], v[114:115], -v[104:105]
	v_mul_f64 v[162:163], v[100:101], v[116:117]
	s_waitcnt vmcnt(0)
	v_mul_f64 v[100:101], v[98:99], v[108:109]
	v_fma_f64 v[164:165], v[96:97], v[106:107], -v[100:101]
	v_mul_f64 v[166:167], v[96:97], v[108:109]
	v_lshl_add_u64 v[96:97], v[224:225], 0, s[34:35]
	v_cndmask_b32_e32 v145, v97, v135, vcc
	v_cndmask_b32_e32 v144, v96, v134, vcc
	v_lshlrev_b64 v[96:97], 5, v[144:145]
	v_lshl_add_u64 v[96:97], s[6:7], 0, v[96:97]
	v_fmac_f64_e32 v[166:167], v[98:99], v[106:107]
	v_lshl_add_u64 v[98:99], v[96:97], 0, s[24:25]
	v_add_co_u32_e32 v96, vcc, s27, v96
	v_fmac_f64_e32 v[162:163], v[102:103], v[114:115]
	s_nop 0
	v_addc_co_u32_e32 v97, vcc, 0, v97, vcc
	global_load_dwordx4 v[102:105], v[96:97], off offset:2944
	s_nop 0
	global_load_dwordx4 v[98:101], v[98:99], off offset:16
	s_mov_b64 s[34:35], 0x26c0
	v_accvgpr_write_b32 a56, v114
	v_accvgpr_write_b32 a57, v115
	;; [unrolled: 1-line block ×8, first 2 shown]
	s_waitcnt vmcnt(1)
	v_mul_f64 v[96:97], v[94:95], v[104:105]
	s_waitcnt vmcnt(0)
	v_mul_f64 v[174:175], v[88:89], v[100:101]
	v_fma_f64 v[168:169], v[92:93], v[102:103], -v[96:97]
	v_mul_f64 v[170:171], v[92:93], v[104:105]
	v_mul_f64 v[92:93], v[90:91], v[100:101]
	v_fmac_f64_e32 v[174:175], v[90:91], v[98:99]
	v_add_co_u32_e32 v90, vcc, s29, v176
	v_fmac_f64_e32 v[170:171], v[94:95], v[102:103]
	s_nop 0
	v_addc_co_u32_e32 v91, vcc, 0, v177, vcc
	v_fma_f64 v[172:173], v[88:89], v[98:99], -v[92:93]
	v_lshl_add_u64 v[88:89], v[176:177], 0, s[34:35]
	global_load_dwordx4 v[94:97], v[90:91], off offset:1728
	s_nop 0
	global_load_dwordx4 v[90:93], v[88:89], off offset:16
	s_mov_b64 s[34:35], 0x37a0
	v_accvgpr_write_b32 a48, v102
	v_accvgpr_write_b32 a49, v103
	;; [unrolled: 1-line block ×8, first 2 shown]
	s_waitcnt vmcnt(1)
	v_mul_f64 v[88:89], v[86:87], v[96:97]
	s_waitcnt vmcnt(0)
	v_mul_f64 v[182:183], v[80:81], v[92:93]
	v_fma_f64 v[120:121], v[84:85], v[94:95], -v[88:89]
	v_mul_f64 v[122:123], v[84:85], v[96:97]
	v_mul_f64 v[84:85], v[82:83], v[92:93]
	v_fmac_f64_e32 v[182:183], v[82:83], v[90:91]
	v_add_co_u32_e32 v82, vcc, s28, v176
	v_fmac_f64_e32 v[122:123], v[86:87], v[94:95]
	s_nop 0
	v_addc_co_u32_e32 v83, vcc, 0, v177, vcc
	v_fma_f64 v[180:181], v[80:81], v[90:91], -v[84:85]
	v_lshl_add_u64 v[80:81], v[176:177], 0, s[34:35]
	global_load_dwordx4 v[86:89], v[82:83], off offset:1952
	s_nop 0
	global_load_dwordx4 v[82:85], v[80:81], off offset:16
	s_mov_b32 s28, 0x91a3
	v_accvgpr_write_b32 a40, v94
	v_accvgpr_write_b32 a41, v95
	;; [unrolled: 1-line block ×8, first 2 shown]
	s_waitcnt vmcnt(1) lgkmcnt(13)
	v_mul_f64 v[80:81], v[78:79], v[88:89]
	v_fma_f64 v[184:185], v[76:77], v[86:87], -v[80:81]
	v_mul_f64 v[186:187], v[76:77], v[88:89]
	s_waitcnt vmcnt(0) lgkmcnt(12)
	v_mul_f64 v[76:77], v[74:75], v[84:85]
	v_fma_f64 v[188:189], v[72:73], v[82:83], -v[76:77]
	v_mul_f64 v[190:191], v[72:73], v[84:85]
	v_mul_u32_u24_sdwa v72, v218, s28 dst_sel:DWORD dst_unused:UNUSED_PAD src0_sel:WORD_0 src1_sel:DWORD
	v_lshrrev_b32_e32 v139, 24, v72
	v_mul_lo_u16_e32 v72, 0x1c2, v139
	v_sub_u16_e32 v143, v218, v72
	v_lshlrev_b16_e32 v72, 5, v143
	v_mov_b32_e32 v73, v221
	v_lshl_add_u64 v[72:73], s[6:7], 0, v[72:73]
	v_fmac_f64_e32 v[190:191], v[74:75], v[82:83]
	v_lshl_add_u64 v[74:75], v[72:73], 0, s[24:25]
	v_add_co_u32_e32 v72, vcc, s27, v72
	v_fmac_f64_e32 v[186:187], v[78:79], v[86:87]
	s_nop 0
	v_addc_co_u32_e32 v73, vcc, 0, v73, vcc
	global_load_dwordx4 v[78:81], v[72:73], off offset:2944
	s_nop 0
	global_load_dwordx4 v[74:77], v[74:75], off offset:16
	v_accvgpr_write_b32 a32, v86
	v_accvgpr_write_b32 a33, v87
	v_accvgpr_write_b32 a34, v88
	v_accvgpr_write_b32 a35, v89
	v_accvgpr_write_b32 a28, v82
	v_accvgpr_write_b32 a29, v83
	v_accvgpr_write_b32 a30, v84
	v_accvgpr_write_b32 a31, v85
	s_waitcnt vmcnt(1) lgkmcnt(10)
	v_mul_f64 v[72:73], v[70:71], v[80:81]
	v_fma_f64 v[128:129], v[68:69], v[78:79], -v[72:73]
	v_mul_f64 v[192:193], v[68:69], v[80:81]
	s_waitcnt vmcnt(0) lgkmcnt(9)
	v_mul_f64 v[68:69], v[66:67], v[76:77]
	v_fma_f64 v[194:195], v[64:65], v[74:75], -v[68:69]
	v_mul_f64 v[196:197], v[64:65], v[76:77]
	v_mul_u32_u24_sdwa v64, v136, s28 dst_sel:DWORD dst_unused:UNUSED_PAD src0_sel:WORD_0 src1_sel:DWORD
	v_mul_lo_u16_sdwa v64, v64, s30 dst_sel:DWORD dst_unused:UNUSED_PAD src0_sel:BYTE_3 src1_sel:DWORD
	v_sub_u16_e32 v141, v136, v64
	v_lshlrev_b16_e32 v64, 5, v141
	v_mov_b32_e32 v65, v221
	v_lshl_add_u64 v[64:65], s[6:7], 0, v[64:65]
	v_fmac_f64_e32 v[196:197], v[66:67], v[74:75]
	v_lshl_add_u64 v[66:67], v[64:65], 0, s[24:25]
	v_add_co_u32_e32 v64, vcc, s27, v64
	v_fmac_f64_e32 v[192:193], v[70:71], v[78:79]
	s_nop 0
	v_addc_co_u32_e32 v65, vcc, 0, v65, vcc
	global_load_dwordx4 v[70:73], v[64:65], off offset:2944
	s_nop 0
	global_load_dwordx4 v[66:69], v[66:67], off offset:16
	v_accvgpr_write_b32 a24, v78
	v_accvgpr_write_b32 a25, v79
	v_accvgpr_write_b32 a26, v80
	v_accvgpr_write_b32 a27, v81
	v_accvgpr_write_b32 a20, v74
	v_accvgpr_write_b32 a21, v75
	v_accvgpr_write_b32 a22, v76
	v_accvgpr_write_b32 a23, v77
	s_waitcnt vmcnt(1) lgkmcnt(7)
	v_mul_f64 v[64:65], v[62:63], v[72:73]
	v_fma_f64 v[198:199], v[60:61], v[70:71], -v[64:65]
	v_mul_f64 v[200:201], v[60:61], v[72:73]
	s_waitcnt vmcnt(0) lgkmcnt(6)
	v_mul_f64 v[60:61], v[58:59], v[68:69]
	v_fma_f64 v[202:203], v[56:57], v[66:67], -v[60:61]
	v_mul_f64 v[204:205], v[56:57], v[68:69]
	v_mul_u32_u24_sdwa v56, v140, s28 dst_sel:DWORD dst_unused:UNUSED_PAD src0_sel:WORD_0 src1_sel:DWORD
	v_mul_lo_u16_sdwa v56, v56, s30 dst_sel:DWORD dst_unused:UNUSED_PAD src0_sel:BYTE_3 src1_sel:DWORD
	;; [unrolled: 31-line block ×3, first 2 shown]
	v_sub_u16_e32 v137, v130, v48
	v_lshlrev_b16_e32 v48, 5, v137
	v_mov_b32_e32 v49, v221
	v_lshl_add_u64 v[48:49], s[6:7], 0, v[48:49]
	v_fmac_f64_e32 v[212:213], v[50:51], v[58:59]
	v_lshl_add_u64 v[50:51], v[48:49], 0, s[24:25]
	v_add_co_u32_e32 v48, vcc, s27, v48
	v_accvgpr_write_b32 a8, v62
	s_nop 0
	v_addc_co_u32_e32 v49, vcc, 0, v49, vcc
	global_load_dwordx4 v[214:217], v[48:49], off offset:2944
	s_nop 0
	global_load_dwordx4 v[50:53], v[50:51], off offset:16
	v_accvgpr_write_b32 a9, v63
	v_accvgpr_write_b32 a10, v64
	;; [unrolled: 1-line block ×7, first 2 shown]
	v_fmac_f64_e32 v[208:209], v[54:55], v[62:63]
	s_waitcnt lgkmcnt(0)
	s_barrier
	v_cmp_lt_u16_e32 vcc, 44, v224
	s_movk_i32 s24, 0x546
	v_lshlrev_b32_e32 v225, 4, v137
	s_waitcnt vmcnt(1)
	v_mul_f64 v[48:49], v[46:47], v[216:217]
	v_fma_f64 v[222:223], v[44:45], v[214:215], -v[48:49]
	v_mul_f64 v[226:227], v[44:45], v[216:217]
	s_waitcnt vmcnt(0)
	v_mul_f64 v[44:45], v[42:43], v[52:53]
	v_fma_f64 v[228:229], v[40:41], v[50:51], -v[44:45]
	v_mul_f64 v[230:231], v[40:41], v[52:53]
	v_add_f64 v[40:41], v[36:37], v[148:149]
	v_add_f64 v[116:117], v[40:41], v[152:153]
	v_add_f64 v[40:41], v[148:149], v[152:153]
	v_fmac_f64_e32 v[36:37], -0.5, v[40:41]
	v_add_f64 v[40:41], v[150:151], -v[112:113]
	v_fma_f64 v[108:109], s[2:3], v[40:41], v[36:37]
	v_fmac_f64_e32 v[36:37], s[4:5], v[40:41]
	v_add_f64 v[40:41], v[38:39], v[150:151]
	v_add_f64 v[118:119], v[40:41], v[112:113]
	v_add_f64 v[40:41], v[150:151], v[112:113]
	v_fmac_f64_e32 v[38:39], -0.5, v[40:41]
	v_add_f64 v[40:41], v[148:149], -v[152:153]
	v_fma_f64 v[110:111], s[4:5], v[40:41], v[38:39]
	v_fmac_f64_e32 v[38:39], s[2:3], v[40:41]
	;; [unrolled: 7-line block ×15, first 2 shown]
	v_add_f64 v[40:41], v[10:11], v[200:201]
	v_add_f64 v[62:63], v[40:41], v[204:205]
	;; [unrolled: 1-line block ×3, first 2 shown]
	v_fmac_f64_e32 v[10:11], -0.5, v[40:41]
	v_add_f64 v[40:41], v[198:199], -v[202:203]
	v_accvgpr_write_b32 a0, v50
	v_fma_f64 v[58:59], s[4:5], v[40:41], v[10:11]
	v_fmac_f64_e32 v[10:11], s[2:3], v[40:41]
	v_add_f64 v[40:41], v[4:5], v[206:207]
	v_accvgpr_write_b32 a1, v51
	v_accvgpr_write_b32 a2, v52
	;; [unrolled: 1-line block ×3, first 2 shown]
	v_add_f64 v[52:53], v[40:41], v[210:211]
	v_add_f64 v[40:41], v[206:207], v[210:211]
	v_fmac_f64_e32 v[4:5], -0.5, v[40:41]
	v_add_f64 v[40:41], v[208:209], -v[212:213]
	v_fma_f64 v[48:49], s[2:3], v[40:41], v[4:5]
	v_fmac_f64_e32 v[4:5], s[4:5], v[40:41]
	v_add_f64 v[40:41], v[6:7], v[208:209]
	v_add_f64 v[54:55], v[40:41], v[212:213]
	;; [unrolled: 1-line block ×3, first 2 shown]
	v_fmac_f64_e32 v[6:7], -0.5, v[40:41]
	v_add_f64 v[40:41], v[206:207], -v[210:211]
	v_fmac_f64_e32 v[230:231], v[42:43], v[50:51]
	v_fma_f64 v[50:51], s[4:5], v[40:41], v[6:7]
	v_fmac_f64_e32 v[6:7], s[2:3], v[40:41]
	v_add_f64 v[40:41], v[0:1], v[222:223]
	ds_write_b128 v220, v[116:119]
	ds_write_b128 v220, v[108:111] offset:7200
	ds_write_b128 v220, v[36:39] offset:14400
	;; [unrolled: 1-line block ×8, first 2 shown]
	v_mov_b32_e32 v28, 0x546
	v_fmac_f64_e32 v[226:227], v[46:47], v[214:215]
	v_add_f64 v[44:45], v[40:41], v[228:229]
	v_add_f64 v[40:41], v[222:223], v[228:229]
	v_cndmask_b32_e32 v28, 0, v28, vcc
	v_fmac_f64_e32 v[0:1], -0.5, v[40:41]
	v_add_f64 v[42:43], v[226:227], -v[230:231]
	v_add_lshl_u32 v28, v144, v28, 4
	v_fma_f64 v[40:41], s[2:3], v[42:43], v[0:1]
	v_fmac_f64_e32 v[0:1], s[4:5], v[42:43]
	v_add_f64 v[42:43], v[2:3], v[226:227]
	ds_write_b128 v28, v[92:95]
	ds_write_b128 v28, v[88:91] offset:7200
	ds_write_b128 v28, v[24:27] offset:14400
	;; [unrolled: 1-line block ×8, first 2 shown]
	v_mad_legacy_u16 v16, v139, s24, v143
	v_add_f64 v[46:47], v[42:43], v[230:231]
	v_add_f64 v[42:43], v[226:227], v[230:231]
	v_lshlrev_b32_e32 v16, 4, v16
	v_fmac_f64_e32 v[2:3], -0.5, v[42:43]
	v_add_f64 v[120:121], v[222:223], -v[228:229]
	ds_write_b128 v16, v[68:71]
	ds_write_b128 v16, v[64:67] offset:7200
	ds_write_b128 v16, v[12:15] offset:14400
	v_lshlrev_b32_e32 v12, 4, v141
	v_fma_f64 v[42:43], s[4:5], v[120:121], v[2:3]
	v_fmac_f64_e32 v[2:3], s[2:3], v[120:121]
	ds_write_b128 v12, v[60:63] offset:43200
	ds_write_b128 v12, v[56:59] offset:50400
	;; [unrolled: 1-line block ×3, first 2 shown]
	v_lshlrev_b32_e32 v8, 4, v135
	ds_write_b128 v8, v[52:55] offset:43200
	ds_write_b128 v8, v[48:51] offset:50400
	;; [unrolled: 1-line block ×6, first 2 shown]
	v_add_co_u32_e32 v2, vcc, s26, v176
	s_mov_b64 s[24:25], 0x53c0
	s_nop 0
	v_addc_co_u32_e32 v3, vcc, 0, v177, vcc
	v_accvgpr_write_b32 a228, v28
	v_accvgpr_write_b32 a255, v16
	;; [unrolled: 1-line block ×4, first 2 shown]
	s_waitcnt lgkmcnt(0)
	s_barrier
	ds_read_b128 v[36:39], v220
	ds_read_b128 v[116:119], v220 offset:21600
	ds_read_b128 v[112:115], v220 offset:43200
	;; [unrolled: 1-line block ×29, first 2 shown]
	v_lshl_add_u64 v[0:1], v[176:177], 0, s[24:25]
	global_load_dwordx4 v[206:209], v[2:3], off offset:960
	global_load_dwordx4 v[210:213], v[0:1], off offset:16
	s_waitcnt vmcnt(1) lgkmcnt(14)
	v_mul_f64 v[0:1], v[118:119], v[208:209]
	v_fma_f64 v[2:3], v[116:117], v[206:207], -v[0:1]
	s_waitcnt vmcnt(0)
	v_mul_f64 v[0:1], v[114:115], v[212:213]
	v_fma_f64 v[252:253], v[112:113], v[210:211], -v[0:1]
	v_mul_f64 v[112:113], v[112:113], v[212:213]
	v_fmac_f64_e32 v[112:113], v[114:115], v[210:211]
	v_add_co_u32_e32 v114, vcc, s26, v178
	v_lshl_add_u64 v[0:1], v[178:179], 0, s[24:25]
	s_nop 0
	v_addc_co_u32_e32 v115, vcc, 0, v179, vcc
	global_load_dwordx4 v[198:201], v[114:115], off offset:960
	global_load_dwordx4 v[202:205], v[0:1], off offset:16
	v_mul_f64 v[248:249], v[116:117], v[208:209]
	v_fmac_f64_e32 v[248:249], v[118:119], v[206:207]
	s_waitcnt vmcnt(1)
	v_mul_f64 v[0:1], v[110:111], v[200:201]
	v_fma_f64 v[114:115], v[108:109], v[198:199], -v[0:1]
	v_mul_f64 v[254:255], v[108:109], v[200:201]
	s_waitcnt vmcnt(0)
	v_mul_f64 v[0:1], v[106:107], v[204:205]
	v_fmac_f64_e32 v[254:255], v[110:111], v[198:199]
	v_fma_f64 v[108:109], v[104:105], v[202:203], -v[0:1]
	v_mul_f64 v[110:111], v[104:105], v[204:205]
	v_add_co_u32_e32 v104, vcc, s26, v124
	v_lshl_add_u64 v[0:1], v[124:125], 0, s[24:25]
	s_nop 0
	v_addc_co_u32_e32 v105, vcc, 0, v125, vcc
	global_load_dwordx4 v[190:193], v[104:105], off offset:960
	global_load_dwordx4 v[194:197], v[0:1], off offset:16
	v_fmac_f64_e32 v[110:111], v[106:107], v[202:203]
	s_waitcnt vmcnt(1)
	v_mul_f64 v[0:1], v[102:103], v[192:193]
	v_fma_f64 v[124:125], v[100:101], v[190:191], -v[0:1]
	v_mul_f64 v[100:101], v[100:101], v[192:193]
	s_waitcnt vmcnt(0)
	v_mul_f64 v[0:1], v[98:99], v[196:197]
	v_fmac_f64_e32 v[100:101], v[102:103], v[190:191]
	v_fma_f64 v[102:103], v[96:97], v[194:195], -v[0:1]
	v_lshlrev_b32_e32 v0, 5, v134
	v_mov_b32_e32 v1, v221
	v_mul_f64 v[96:97], v[96:97], v[196:197]
	v_lshl_add_u64 v[0:1], s[6:7], 0, v[0:1]
	v_fmac_f64_e32 v[96:97], v[98:99], v[194:195]
	v_lshl_add_u64 v[98:99], v[0:1], 0, s[24:25]
	v_add_co_u32_e32 v0, vcc, s26, v0
	s_nop 1
	v_addc_co_u32_e32 v1, vcc, 0, v1, vcc
	global_load_dwordx4 v[182:185], v[0:1], off offset:960
	global_load_dwordx4 v[186:189], v[98:99], off offset:16
	s_waitcnt vmcnt(1)
	v_mul_f64 v[0:1], v[94:95], v[184:185]
	v_fma_f64 v[98:99], v[92:93], v[182:183], -v[0:1]
	v_mul_f64 v[92:93], v[92:93], v[184:185]
	s_waitcnt vmcnt(0)
	v_mul_f64 v[0:1], v[90:91], v[188:189]
	v_fmac_f64_e32 v[92:93], v[94:95], v[182:183]
	v_fma_f64 v[94:95], v[88:89], v[186:187], -v[0:1]
	v_mul_f64 v[0:1], v[88:89], v[188:189]
	v_lshlrev_b32_e32 v88, 5, v138
	v_mov_b32_e32 v89, v221
	v_lshl_add_u64 v[88:89], s[6:7], 0, v[88:89]
	v_fmac_f64_e32 v[0:1], v[90:91], v[186:187]
	v_lshl_add_u64 v[90:91], v[88:89], 0, s[24:25]
	v_add_co_u32_e32 v88, vcc, s26, v88
	s_nop 1
	v_addc_co_u32_e32 v89, vcc, 0, v89, vcc
	global_load_dwordx4 v[174:177], v[88:89], off offset:960
	global_load_dwordx4 v[178:181], v[90:91], off offset:16
	s_waitcnt vmcnt(1)
	v_mul_f64 v[88:89], v[86:87], v[176:177]
	v_fma_f64 v[244:245], v[84:85], v[174:175], -v[88:89]
	v_mul_f64 v[246:247], v[84:85], v[176:177]
	s_waitcnt vmcnt(0)
	v_mul_f64 v[84:85], v[82:83], v[180:181]
	v_fma_f64 v[240:241], v[80:81], v[178:179], -v[84:85]
	v_mul_f64 v[242:243], v[80:81], v[180:181]
	v_lshlrev_b32_e32 v80, 5, v142
	v_mov_b32_e32 v81, v221
	v_lshl_add_u64 v[80:81], s[6:7], 0, v[80:81]
	v_fmac_f64_e32 v[242:243], v[82:83], v[178:179]
	v_lshl_add_u64 v[82:83], v[80:81], 0, s[24:25]
	v_add_co_u32_e32 v80, vcc, s26, v80
	v_fmac_f64_e32 v[246:247], v[86:87], v[174:175]
	s_nop 0
	v_addc_co_u32_e32 v81, vcc, 0, v81, vcc
	global_load_dwordx4 v[166:169], v[80:81], off offset:960
	global_load_dwordx4 v[170:173], v[82:83], off offset:16
	s_waitcnt vmcnt(1) lgkmcnt(13)
	v_mul_f64 v[80:81], v[78:79], v[168:169]
	v_fma_f64 v[232:233], v[76:77], v[166:167], -v[80:81]
	v_mul_f64 v[228:229], v[76:77], v[168:169]
	s_waitcnt vmcnt(0) lgkmcnt(12)
	v_mul_f64 v[76:77], v[74:75], v[172:173]
	v_fma_f64 v[230:231], v[72:73], v[170:171], -v[76:77]
	v_mul_f64 v[128:129], v[72:73], v[172:173]
	v_lshlrev_b32_e32 v72, 5, v218
	v_mov_b32_e32 v73, v221
	v_lshl_add_u64 v[72:73], s[6:7], 0, v[72:73]
	v_fmac_f64_e32 v[128:129], v[74:75], v[170:171]
	v_lshl_add_u64 v[74:75], v[72:73], 0, s[24:25]
	v_add_co_u32_e32 v72, vcc, s26, v72
	v_fmac_f64_e32 v[228:229], v[78:79], v[166:167]
	s_nop 0
	v_addc_co_u32_e32 v73, vcc, 0, v73, vcc
	global_load_dwordx4 v[158:161], v[72:73], off offset:960
	global_load_dwordx4 v[162:165], v[74:75], off offset:16
	s_waitcnt vmcnt(1) lgkmcnt(10)
	v_mul_f64 v[72:73], v[70:71], v[160:161]
	v_fma_f64 v[222:223], v[68:69], v[158:159], -v[72:73]
	v_mul_f64 v[226:227], v[68:69], v[160:161]
	s_waitcnt vmcnt(0) lgkmcnt(9)
	v_mul_f64 v[68:69], v[66:67], v[164:165]
	v_fma_f64 v[234:235], v[64:65], v[162:163], -v[68:69]
	v_mul_f64 v[236:237], v[64:65], v[164:165]
	v_lshlrev_b32_e32 v64, 5, v136
	v_mov_b32_e32 v65, v221
	v_lshl_add_u64 v[64:65], s[6:7], 0, v[64:65]
	v_fmac_f64_e32 v[236:237], v[66:67], v[162:163]
	v_lshl_add_u64 v[66:67], v[64:65], 0, s[24:25]
	v_add_co_u32_e32 v64, vcc, s26, v64
	v_fmac_f64_e32 v[226:227], v[70:71], v[158:159]
	s_nop 0
	v_addc_co_u32_e32 v65, vcc, 0, v65, vcc
	global_load_dwordx4 v[150:153], v[64:65], off offset:960
	global_load_dwordx4 v[154:157], v[66:67], off offset:16
	s_waitcnt vmcnt(1) lgkmcnt(7)
	v_mul_f64 v[64:65], v[62:63], v[152:153]
	v_fma_f64 v[218:219], v[60:61], v[150:151], -v[64:65]
	v_mul_f64 v[60:61], v[60:61], v[152:153]
	v_fmac_f64_e32 v[60:61], v[62:63], v[150:151]
	s_waitcnt vmcnt(0) lgkmcnt(6)
	v_mul_f64 v[62:63], v[58:59], v[156:157]
	v_fma_f64 v[62:63], v[56:57], v[154:155], -v[62:63]
	v_mul_f64 v[56:57], v[56:57], v[156:157]
	v_fmac_f64_e32 v[56:57], v[58:59], v[154:155]
	v_lshlrev_b32_e32 v58, 5, v140
	v_mov_b32_e32 v59, v221
	v_lshl_add_u64 v[58:59], s[6:7], 0, v[58:59]
	v_lshl_add_u64 v[64:65], v[58:59], 0, s[24:25]
	v_add_co_u32_e32 v58, vcc, s26, v58
	s_nop 1
	v_addc_co_u32_e32 v59, vcc, 0, v59, vcc
	global_load_dwordx4 v[142:145], v[58:59], off offset:960
	global_load_dwordx4 v[146:149], v[64:65], off offset:16
	s_waitcnt vmcnt(1) lgkmcnt(4)
	v_mul_f64 v[58:59], v[54:55], v[144:145]
	v_fma_f64 v[58:59], v[52:53], v[142:143], -v[58:59]
	v_mul_f64 v[52:53], v[52:53], v[144:145]
	v_fmac_f64_e32 v[52:53], v[54:55], v[142:143]
	s_waitcnt vmcnt(0) lgkmcnt(3)
	v_mul_f64 v[54:55], v[50:51], v[148:149]
	v_fma_f64 v[54:55], v[48:49], v[146:147], -v[54:55]
	v_mul_f64 v[64:65], v[48:49], v[148:149]
	v_lshlrev_b32_e32 v48, 5, v130
	v_mov_b32_e32 v49, v221
	v_lshl_add_u64 v[48:49], s[6:7], 0, v[48:49]
	v_fmac_f64_e32 v[64:65], v[50:51], v[146:147]
	v_lshl_add_u64 v[50:51], v[48:49], 0, s[24:25]
	v_add_co_u32_e32 v48, vcc, s26, v48
	s_mov_b64 s[6:7], 0xfd20
	s_nop 0
	v_addc_co_u32_e32 v49, vcc, 0, v49, vcc
	global_load_dwordx4 v[134:137], v[48:49], off offset:960
	global_load_dwordx4 v[138:141], v[50:51], off offset:16
	s_waitcnt vmcnt(1) lgkmcnt(1)
	v_mul_f64 v[48:49], v[46:47], v[136:137]
	v_fma_f64 v[66:67], v[44:45], v[134:135], -v[48:49]
	v_mul_f64 v[68:69], v[44:45], v[136:137]
	s_waitcnt vmcnt(0) lgkmcnt(0)
	v_mul_f64 v[44:45], v[122:123], v[140:141]
	v_fma_f64 v[70:71], v[120:121], v[138:139], -v[44:45]
	v_add_f64 v[44:45], v[36:37], v[2:3]
	v_add_f64 v[116:117], v[44:45], v[252:253]
	v_add_f64 v[44:45], v[2:3], v[252:253]
	v_fmac_f64_e32 v[68:69], v[46:47], v[134:135]
	v_fmac_f64_e32 v[36:37], -0.5, v[44:45]
	v_add_f64 v[46:47], v[248:249], -v[112:113]
	v_fma_f64 v[44:45], s[2:3], v[46:47], v[36:37]
	v_fmac_f64_e32 v[36:37], s[4:5], v[46:47]
	v_add_f64 v[46:47], v[38:39], v[248:249]
	v_add_f64 v[118:119], v[46:47], v[112:113]
	v_add_f64 v[46:47], v[248:249], v[112:113]
	v_fmac_f64_e32 v[38:39], -0.5, v[46:47]
	v_add_f64 v[2:3], v[2:3], -v[252:253]
	v_fma_f64 v[46:47], s[4:5], v[2:3], v[38:39]
	v_fmac_f64_e32 v[38:39], s[2:3], v[2:3]
	v_add_f64 v[2:3], v[32:33], v[114:115]
	v_add_f64 v[48:49], v[2:3], v[108:109]
	v_add_f64 v[2:3], v[114:115], v[108:109]
	;; [unrolled: 7-line block ×3, first 2 shown]
	v_fmac_f64_e32 v[34:35], -0.5, v[2:3]
	v_add_f64 v[2:3], v[114:115], -v[108:109]
	v_fma_f64 v[106:107], s[4:5], v[2:3], v[34:35]
	v_fmac_f64_e32 v[34:35], s[2:3], v[2:3]
	v_add_f64 v[2:3], v[28:29], v[124:125]
	v_mul_f64 v[72:73], v[120:121], v[140:141]
	v_add_f64 v[120:121], v[2:3], v[102:103]
	v_add_f64 v[2:3], v[124:125], v[102:103]
	v_fmac_f64_e32 v[28:29], -0.5, v[2:3]
	v_add_f64 v[2:3], v[100:101], -v[96:97]
	v_fma_f64 v[252:253], s[2:3], v[2:3], v[28:29]
	v_fmac_f64_e32 v[28:29], s[4:5], v[2:3]
	v_add_f64 v[2:3], v[30:31], v[100:101]
	v_fmac_f64_e32 v[72:73], v[122:123], v[138:139]
	v_add_f64 v[122:123], v[2:3], v[96:97]
	v_add_f64 v[2:3], v[100:101], v[96:97]
	v_fmac_f64_e32 v[30:31], -0.5, v[2:3]
	v_add_f64 v[2:3], v[124:125], -v[102:103]
	v_fma_f64 v[254:255], s[4:5], v[2:3], v[30:31]
	v_fmac_f64_e32 v[30:31], s[2:3], v[2:3]
	v_add_f64 v[2:3], v[24:25], v[98:99]
	v_add_f64 v[100:101], v[2:3], v[94:95]
	v_add_f64 v[2:3], v[98:99], v[94:95]
	v_fmac_f64_e32 v[24:25], -0.5, v[2:3]
	v_add_f64 v[2:3], v[92:93], -v[0:1]
	v_fma_f64 v[88:89], s[2:3], v[2:3], v[24:25]
	v_fmac_f64_e32 v[24:25], s[4:5], v[2:3]
	v_add_f64 v[2:3], v[26:27], v[92:93]
	;; [unrolled: 7-line block ×12, first 2 shown]
	v_add_f64 v[62:63], v[0:1], v[64:65]
	v_add_f64 v[0:1], v[52:53], v[64:65]
	v_fmac_f64_e32 v[6:7], -0.5, v[0:1]
	v_add_f64 v[0:1], v[58:59], -v[54:55]
	v_add_f64 v[2:3], v[66:67], v[70:71]
	v_fma_f64 v[94:95], s[4:5], v[0:1], v[6:7]
	v_fmac_f64_e32 v[6:7], s[2:3], v[0:1]
	v_add_f64 v[0:1], v[40:41], v[66:67]
	v_fmac_f64_e32 v[40:41], -0.5, v[2:3]
	v_add_f64 v[2:3], v[68:69], -v[72:73]
	v_add_f64 v[52:53], v[68:69], v[72:73]
	v_fma_f64 v[108:109], s[2:3], v[2:3], v[40:41]
	v_fmac_f64_e32 v[40:41], s[4:5], v[2:3]
	v_add_f64 v[2:3], v[42:43], v[68:69]
	v_fmac_f64_e32 v[42:43], -0.5, v[52:53]
	v_add_f64 v[52:53], v[66:67], -v[70:71]
	v_add_f64 v[0:1], v[0:1], v[70:71]
	v_add_f64 v[2:3], v[2:3], v[72:73]
	v_fma_f64 v[110:111], s[4:5], v[52:53], v[42:43]
	v_fmac_f64_e32 v[42:43], s[2:3], v[52:53]
	ds_write_b128 v220, v[116:119]
	ds_write_b128 v220, v[44:47] offset:21600
	ds_write_b128 v220, v[36:39] offset:43200
	;; [unrolled: 1-line block ×29, first 2 shown]
	s_waitcnt lgkmcnt(0)
	s_barrier
	global_load_dwordx4 v[4:7], v[250:251], off offset:3360
	ds_read_b128 v[0:3], v220
	v_lshl_add_u64 v[16:17], v[126:127], 0, s[6:7]
	s_mov_b32 s6, 0x11000
	v_add_co_u32_e32 v12, vcc, s6, v126
	s_mov_b32 s6, 0x12000
	s_nop 0
	v_addc_co_u32_e32 v13, vcc, 0, v127, vcc
	s_waitcnt vmcnt(0) lgkmcnt(0)
	v_mul_f64 v[8:9], v[2:3], v[6:7]
	v_mul_f64 v[10:11], v[0:1], v[6:7]
	v_fma_f64 v[8:9], v[0:1], v[4:5], -v[8:9]
	v_fmac_f64_e32 v[10:11], v[2:3], v[4:5]
	global_load_dwordx4 v[4:7], v[12:13], off offset:1648
	ds_read_b128 v[0:3], v220 offset:6480
	ds_write_b128 v220, v[8:11]
	s_waitcnt vmcnt(0) lgkmcnt(1)
	v_mul_f64 v[8:9], v[2:3], v[6:7]
	v_mul_f64 v[10:11], v[0:1], v[6:7]
	v_fma_f64 v[8:9], v[0:1], v[4:5], -v[8:9]
	v_fmac_f64_e32 v[10:11], v[2:3], v[4:5]
	ds_write_b128 v220, v[8:11] offset:6480
	v_add_co_u32_e32 v10, vcc, s6, v126
	ds_read_b128 v[0:3], v220 offset:12960
	s_nop 0
	v_addc_co_u32_e32 v11, vcc, 0, v127, vcc
	global_load_dwordx4 v[4:7], v[10:11], off offset:4032
	s_mov_b32 s6, 0x14000
	s_waitcnt vmcnt(0) lgkmcnt(0)
	v_mul_f64 v[8:9], v[2:3], v[6:7]
	v_fma_f64 v[18:19], v[0:1], v[4:5], -v[8:9]
	v_add_co_u32_e32 v8, vcc, s6, v126
	v_mul_f64 v[20:21], v[0:1], v[6:7]
	s_nop 0
	v_addc_co_u32_e32 v9, vcc, 0, v127, vcc
	v_fmac_f64_e32 v[20:21], v[2:3], v[4:5]
	global_load_dwordx4 v[4:7], v[8:9], off offset:2320
	ds_read_b128 v[0:3], v220 offset:19440
	s_mov_b32 s6, 0x16000
	ds_write_b128 v220, v[18:21] offset:12960
	s_waitcnt vmcnt(0) lgkmcnt(1)
	v_mul_f64 v[14:15], v[2:3], v[6:7]
	v_fma_f64 v[18:19], v[0:1], v[4:5], -v[14:15]
	v_add_co_u32_e32 v14, vcc, s6, v126
	v_mul_f64 v[20:21], v[0:1], v[6:7]
	s_nop 0
	v_addc_co_u32_e32 v15, vcc, 0, v127, vcc
	v_fmac_f64_e32 v[20:21], v[2:3], v[4:5]
	global_load_dwordx4 v[4:7], v[14:15], off offset:608
	ds_read_b128 v[0:3], v220 offset:25920
	s_mov_b32 s6, 0x17000
	ds_write_b128 v220, v[18:21] offset:19440
	s_waitcnt vmcnt(0) lgkmcnt(1)
	v_mul_f64 v[18:19], v[2:3], v[6:7]
	v_mul_f64 v[20:21], v[0:1], v[6:7]
	v_add_co_u32_e32 v6, vcc, s6, v126
	v_fma_f64 v[18:19], v[0:1], v[4:5], -v[18:19]
	v_fmac_f64_e32 v[20:21], v[2:3], v[4:5]
	v_addc_co_u32_e32 v7, vcc, 0, v127, vcc
	ds_write_b128 v220, v[18:21] offset:25920
	global_load_dwordx4 v[18:21], v[6:7], off offset:2992
	ds_read_b128 v[0:3], v220 offset:32400
	s_mov_b32 s6, 0x19000
	s_waitcnt vmcnt(0) lgkmcnt(0)
	v_mul_f64 v[4:5], v[2:3], v[20:21]
	v_mul_f64 v[24:25], v[0:1], v[20:21]
	v_fma_f64 v[22:23], v[0:1], v[18:19], -v[4:5]
	v_fmac_f64_e32 v[24:25], v[2:3], v[18:19]
	v_add_co_u32_e32 v18, vcc, s6, v126
	ds_write_b128 v220, v[22:25] offset:32400
	s_nop 0
	v_addc_co_u32_e32 v19, vcc, 0, v127, vcc
	global_load_dwordx4 v[20:23], v[18:19], off offset:1280
	ds_read_b128 v[0:3], v220 offset:38880
	s_mov_b32 s6, 0x1a000
	s_waitcnt vmcnt(0) lgkmcnt(0)
	v_mul_f64 v[4:5], v[2:3], v[22:23]
	v_fma_f64 v[24:25], v[0:1], v[20:21], -v[4:5]
	v_add_co_u32_e32 v4, vcc, s6, v126
	v_mul_f64 v[26:27], v[0:1], v[22:23]
	s_nop 0
	v_addc_co_u32_e32 v5, vcc, 0, v127, vcc
	v_fmac_f64_e32 v[26:27], v[2:3], v[20:21]
	global_load_dwordx4 v[20:23], v[4:5], off offset:3664
	ds_read_b128 v[0:3], v220 offset:45360
	ds_write_b128 v220, v[24:27] offset:38880
	s_mov_b32 s6, 0x1c000
	s_waitcnt vmcnt(0) lgkmcnt(1)
	v_mul_f64 v[24:25], v[2:3], v[22:23]
	v_mul_f64 v[26:27], v[0:1], v[22:23]
	v_fma_f64 v[24:25], v[0:1], v[20:21], -v[24:25]
	v_fmac_f64_e32 v[26:27], v[2:3], v[20:21]
	v_add_co_u32_e32 v20, vcc, s6, v126
	ds_read_b128 v[0:3], v220 offset:51840
	s_nop 0
	v_addc_co_u32_e32 v21, vcc, 0, v127, vcc
	global_load_dwordx4 v[20:23], v[20:21], off offset:1952
	ds_write_b128 v220, v[24:27] offset:45360
	s_mov_b32 s6, 0x1e000
	s_waitcnt vmcnt(0) lgkmcnt(1)
	v_mul_f64 v[24:25], v[2:3], v[22:23]
	v_mul_f64 v[26:27], v[0:1], v[22:23]
	v_fma_f64 v[24:25], v[0:1], v[20:21], -v[24:25]
	v_fmac_f64_e32 v[26:27], v[2:3], v[20:21]
	v_add_co_u32_e32 v20, vcc, s6, v126
	ds_write_b128 v220, v[24:27] offset:51840
	s_nop 0
	v_addc_co_u32_e32 v21, vcc, 0, v127, vcc
	global_load_dwordx4 v[22:25], v[20:21], off offset:240
	ds_read_b128 v[0:3], v220 offset:58320
	s_mov_b32 s6, 0x13000
	s_waitcnt vmcnt(0) lgkmcnt(0)
	v_mul_f64 v[26:27], v[2:3], v[24:25]
	v_mul_f64 v[28:29], v[0:1], v[24:25]
	v_fma_f64 v[26:27], v[0:1], v[22:23], -v[26:27]
	v_fmac_f64_e32 v[28:29], v[2:3], v[22:23]
	global_load_dwordx4 v[22:25], v[16:17], off offset:2160
	ds_read_b128 v[0:3], v220 offset:2160
	ds_write_b128 v220, v[26:29] offset:58320
	s_waitcnt vmcnt(0) lgkmcnt(1)
	v_mul_f64 v[16:17], v[2:3], v[24:25]
	v_mul_f64 v[28:29], v[0:1], v[24:25]
	v_fma_f64 v[26:27], v[0:1], v[22:23], -v[16:17]
	v_fmac_f64_e32 v[28:29], v[2:3], v[22:23]
	global_load_dwordx4 v[22:25], v[12:13], off offset:3808
	ds_read_b128 v[0:3], v220 offset:8640
	ds_write_b128 v220, v[26:29] offset:2160
	s_waitcnt vmcnt(0) lgkmcnt(1)
	v_mul_f64 v[12:13], v[2:3], v[24:25]
	v_fma_f64 v[26:27], v[0:1], v[22:23], -v[12:13]
	v_add_co_u32_e32 v12, vcc, s6, v126
	v_mul_f64 v[28:29], v[0:1], v[24:25]
	s_nop 0
	v_addc_co_u32_e32 v13, vcc, 0, v127, vcc
	v_fmac_f64_e32 v[28:29], v[2:3], v[22:23]
	global_load_dwordx4 v[22:25], v[12:13], off offset:2096
	ds_read_b128 v[0:3], v220 offset:15120
	ds_write_b128 v220, v[26:29] offset:8640
	s_mov_b32 s6, 0x15000
	s_waitcnt vmcnt(0) lgkmcnt(1)
	v_mul_f64 v[12:13], v[2:3], v[24:25]
	v_mul_f64 v[28:29], v[0:1], v[24:25]
	v_fma_f64 v[26:27], v[0:1], v[22:23], -v[12:13]
	v_fmac_f64_e32 v[28:29], v[2:3], v[22:23]
	v_add_co_u32_e32 v22, vcc, s6, v126
	ds_write_b128 v220, v[26:29] offset:15120
	s_nop 0
	v_addc_co_u32_e32 v23, vcc, 0, v127, vcc
	global_load_dwordx4 v[24:27], v[22:23], off offset:384
	ds_read_b128 v[0:3], v220 offset:21600
	s_mov_b32 s6, 0x18000
	s_waitcnt vmcnt(0) lgkmcnt(0)
	v_mul_f64 v[12:13], v[2:3], v[26:27]
	v_fma_f64 v[28:29], v[0:1], v[24:25], -v[12:13]
	global_load_dwordx4 v[12:15], v[14:15], off offset:2768
	v_mul_f64 v[30:31], v[0:1], v[26:27]
	v_fmac_f64_e32 v[30:31], v[2:3], v[24:25]
	ds_read_b128 v[0:3], v220 offset:28080
	ds_write_b128 v220, v[28:31] offset:21600
	s_waitcnt vmcnt(0) lgkmcnt(1)
	v_mul_f64 v[16:17], v[2:3], v[14:15]
	v_fma_f64 v[24:25], v[0:1], v[12:13], -v[16:17]
	v_add_co_u32_e32 v16, vcc, s6, v126
	v_mul_f64 v[26:27], v[0:1], v[14:15]
	s_nop 0
	v_addc_co_u32_e32 v17, vcc, 0, v127, vcc
	v_fmac_f64_e32 v[26:27], v[2:3], v[12:13]
	global_load_dwordx4 v[12:15], v[16:17], off offset:1056
	ds_read_b128 v[0:3], v220 offset:34560
	ds_write_b128 v220, v[24:27] offset:28080
	s_mov_b32 s6, 0x1b000
	s_waitcnt vmcnt(0) lgkmcnt(1)
	v_mul_f64 v[24:25], v[2:3], v[14:15]
	v_mul_f64 v[26:27], v[0:1], v[14:15]
	v_fma_f64 v[24:25], v[0:1], v[12:13], -v[24:25]
	v_fmac_f64_e32 v[26:27], v[2:3], v[12:13]
	global_load_dwordx4 v[12:15], v[18:19], off offset:3440
	ds_read_b128 v[0:3], v220 offset:41040
	ds_write_b128 v220, v[24:27] offset:34560
	s_waitcnt vmcnt(0) lgkmcnt(1)
	v_mul_f64 v[18:19], v[2:3], v[14:15]
	v_mul_f64 v[26:27], v[0:1], v[14:15]
	v_add_co_u32_e32 v14, vcc, s6, v126
	v_fma_f64 v[24:25], v[0:1], v[12:13], -v[18:19]
	v_fmac_f64_e32 v[26:27], v[2:3], v[12:13]
	v_addc_co_u32_e32 v15, vcc, 0, v127, vcc
	ds_write_b128 v220, v[24:27] offset:41040
	global_load_dwordx4 v[24:27], v[14:15], off offset:1728
	ds_read_b128 v[0:3], v220 offset:47520
	s_mov_b32 s6, 0x1d000
	s_waitcnt vmcnt(0) lgkmcnt(0)
	v_mul_f64 v[12:13], v[2:3], v[26:27]
	v_fma_f64 v[28:29], v[0:1], v[24:25], -v[12:13]
	v_add_co_u32_e32 v12, vcc, s6, v126
	v_mul_f64 v[30:31], v[0:1], v[26:27]
	s_nop 0
	v_addc_co_u32_e32 v13, vcc, 0, v127, vcc
	v_fmac_f64_e32 v[30:31], v[2:3], v[24:25]
	global_load_dwordx4 v[24:27], v[12:13], off offset:16
	ds_read_b128 v[0:3], v220 offset:54000
	ds_write_b128 v220, v[28:31] offset:47520
	s_mov_b32 s6, 0x10000
	s_waitcnt vmcnt(0) lgkmcnt(1)
	v_mul_f64 v[18:19], v[2:3], v[26:27]
	v_fma_f64 v[28:29], v[0:1], v[24:25], -v[18:19]
	global_load_dwordx4 v[18:21], v[20:21], off offset:2400
	v_mul_f64 v[30:31], v[0:1], v[26:27]
	v_fmac_f64_e32 v[30:31], v[2:3], v[24:25]
	ds_read_b128 v[0:3], v220 offset:60480
	ds_write_b128 v220, v[28:31] offset:54000
	s_waitcnt vmcnt(0) lgkmcnt(1)
	v_mul_f64 v[24:25], v[2:3], v[20:21]
	v_mul_f64 v[26:27], v[0:1], v[20:21]
	v_fma_f64 v[24:25], v[0:1], v[18:19], -v[24:25]
	v_fmac_f64_e32 v[26:27], v[2:3], v[18:19]
	v_add_co_u32_e32 v18, vcc, s6, v126
	ds_read_b128 v[0:3], v220 offset:4320
	s_nop 0
	v_addc_co_u32_e32 v19, vcc, 0, v127, vcc
	global_load_dwordx4 v[18:21], v[18:19], off offset:3584
	ds_write_b128 v220, v[24:27] offset:60480
	s_mov_b32 s6, 0x1f000
	s_waitcnt vmcnt(0) lgkmcnt(1)
	v_mul_f64 v[24:25], v[2:3], v[20:21]
	v_mul_f64 v[26:27], v[0:1], v[20:21]
	v_fma_f64 v[24:25], v[0:1], v[18:19], -v[24:25]
	v_fmac_f64_e32 v[26:27], v[2:3], v[18:19]
	global_load_dwordx4 v[18:21], v[10:11], off offset:1872
	ds_read_b128 v[0:3], v220 offset:10800
	ds_write_b128 v220, v[24:27] offset:4320
	s_waitcnt vmcnt(0) lgkmcnt(1)
	v_mul_f64 v[10:11], v[2:3], v[20:21]
	v_fma_f64 v[24:25], v[0:1], v[18:19], -v[10:11]
	global_load_dwordx4 v[8:11], v[8:9], off offset:160
	v_mul_f64 v[26:27], v[0:1], v[20:21]
	v_fmac_f64_e32 v[26:27], v[2:3], v[18:19]
	ds_read_b128 v[0:3], v220 offset:17280
	ds_write_b128 v220, v[24:27] offset:10800
	s_waitcnt vmcnt(0) lgkmcnt(1)
	v_mul_f64 v[18:19], v[2:3], v[10:11]
	v_mul_f64 v[20:21], v[0:1], v[10:11]
	v_fma_f64 v[18:19], v[0:1], v[8:9], -v[18:19]
	v_fmac_f64_e32 v[20:21], v[2:3], v[8:9]
	global_load_dwordx4 v[8:11], v[22:23], off offset:2544
	ds_read_b128 v[0:3], v220 offset:23760
	ds_write_b128 v220, v[18:21] offset:17280
	s_waitcnt vmcnt(0) lgkmcnt(1)
	v_mul_f64 v[18:19], v[2:3], v[10:11]
	v_mul_f64 v[20:21], v[0:1], v[10:11]
	v_fma_f64 v[18:19], v[0:1], v[8:9], -v[18:19]
	v_fmac_f64_e32 v[20:21], v[2:3], v[8:9]
	global_load_dwordx4 v[6:9], v[6:7], off offset:832
	;; [unrolled: 8-line block ×6, first 2 shown]
	ds_read_b128 v[0:3], v220 offset:56160
	ds_write_b128 v220, v[8:11] offset:49680
	s_waitcnt vmcnt(0) lgkmcnt(1)
	v_mul_f64 v[8:9], v[2:3], v[6:7]
	v_mul_f64 v[10:11], v[0:1], v[6:7]
	v_fma_f64 v[8:9], v[0:1], v[4:5], -v[8:9]
	v_fmac_f64_e32 v[10:11], v[2:3], v[4:5]
	v_add_co_u32_e32 v4, vcc, s6, v126
	ds_read_b128 v[0:3], v220 offset:62640
	s_nop 0
	v_addc_co_u32_e32 v5, vcc, 0, v127, vcc
	global_load_dwordx4 v[4:7], v[4:5], off offset:464
	ds_write_b128 v220, v[8:11] offset:56160
	s_waitcnt vmcnt(0) lgkmcnt(1)
	v_mul_f64 v[8:9], v[2:3], v[6:7]
	v_mul_f64 v[10:11], v[0:1], v[6:7]
	v_fma_f64 v[8:9], v[0:1], v[4:5], -v[8:9]
	v_fmac_f64_e32 v[10:11], v[2:3], v[4:5]
	ds_write_b128 v220, v[8:11] offset:62640
	s_waitcnt lgkmcnt(0)
	s_barrier
	ds_read_b128 v[56:59], v220
	ds_read_b128 v[42:45], v220 offset:6480
	ds_read_b128 v[120:123], v220 offset:12960
	;; [unrolled: 1-line block ×29, first 2 shown]
	s_waitcnt lgkmcnt(14)
	v_add_f64 v[8:9], v[56:57], v[120:121]
	v_add_f64 v[8:9], v[8:9], v[126:127]
	;; [unrolled: 1-line block ×5, first 2 shown]
	v_fma_f64 v[46:47], -0.5, v[8:9], v[56:57]
	v_add_f64 v[8:9], v[122:123], -v[232:233]
	v_fma_f64 v[54:55], s[14:15], v[8:9], v[46:47]
	v_add_f64 v[40:41], v[128:129], -v[228:229]
	v_add_f64 v[52:53], v[120:121], -v[126:127]
	;; [unrolled: 1-line block ×3, first 2 shown]
	v_fmac_f64_e32 v[46:47], s[8:9], v[8:9]
	v_fmac_f64_e32 v[54:55], s[16:17], v[40:41]
	v_add_f64 v[52:53], v[52:53], v[60:61]
	v_fmac_f64_e32 v[46:47], s[10:11], v[40:41]
	v_fmac_f64_e32 v[54:55], s[12:13], v[52:53]
	;; [unrolled: 1-line block ×3, first 2 shown]
	v_add_f64 v[52:53], v[120:121], v[230:231]
	v_fmac_f64_e32 v[56:57], -0.5, v[52:53]
	v_fma_f64 v[60:61], s[8:9], v[40:41], v[56:57]
	v_add_f64 v[52:53], v[126:127], -v[120:121]
	v_add_f64 v[62:63], v[226:227], -v[230:231]
	v_fmac_f64_e32 v[56:57], s[14:15], v[40:41]
	v_add_f64 v[40:41], v[128:129], v[228:229]
	v_fmac_f64_e32 v[60:61], s[16:17], v[8:9]
	v_add_f64 v[52:53], v[52:53], v[62:63]
	v_fmac_f64_e32 v[56:57], s[10:11], v[8:9]
	v_fma_f64 v[124:125], -0.5, v[40:41], v[58:59]
	v_add_f64 v[40:41], v[120:121], -v[230:231]
	v_fmac_f64_e32 v[60:61], s[12:13], v[52:53]
	v_fmac_f64_e32 v[56:57], s[12:13], v[52:53]
	v_fma_f64 v[62:63], s[8:9], v[40:41], v[124:125]
	v_add_f64 v[52:53], v[126:127], -v[226:227]
	v_add_f64 v[120:121], v[122:123], -v[128:129]
	;; [unrolled: 1-line block ×3, first 2 shown]
	v_fmac_f64_e32 v[124:125], s[14:15], v[40:41]
	v_fmac_f64_e32 v[62:63], s[10:11], v[52:53]
	v_add_f64 v[120:121], v[120:121], v[126:127]
	v_fmac_f64_e32 v[124:125], s[16:17], v[52:53]
	v_fmac_f64_e32 v[62:63], s[12:13], v[120:121]
	;; [unrolled: 1-line block ×3, first 2 shown]
	v_add_f64 v[120:121], v[122:123], v[232:233]
	v_add_f64 v[8:9], v[58:59], v[122:123]
	v_fmac_f64_e32 v[58:59], -0.5, v[120:121]
	v_fma_f64 v[126:127], s[14:15], v[52:53], v[58:59]
	v_fmac_f64_e32 v[58:59], s[8:9], v[52:53]
	v_fmac_f64_e32 v[126:127], s[10:11], v[40:41]
	;; [unrolled: 1-line block ×3, first 2 shown]
	v_add_f64 v[40:41], v[42:43], v[24:25]
	v_add_f64 v[40:41], v[40:41], v[28:29]
	;; [unrolled: 1-line block ×3, first 2 shown]
	v_add_f64 v[120:121], v[128:129], -v[122:123]
	v_add_f64 v[122:123], v[228:229], -v[232:233]
	v_add_f64 v[52:53], v[40:41], v[36:37]
	v_add_f64 v[40:41], v[28:29], v[32:33]
	;; [unrolled: 1-line block ×3, first 2 shown]
	v_fma_f64 v[248:249], -0.5, v[40:41], v[42:43]
	v_add_f64 v[40:41], v[26:27], -v[38:39]
	v_add_f64 v[8:9], v[8:9], v[128:129]
	v_fmac_f64_e32 v[126:127], s[12:13], v[120:121]
	v_fmac_f64_e32 v[58:59], s[12:13], v[120:121]
	v_fma_f64 v[122:123], s[14:15], v[40:41], v[248:249]
	v_add_f64 v[120:121], v[30:31], -v[34:35]
	v_add_f64 v[128:129], v[24:25], -v[28:29]
	;; [unrolled: 1-line block ×3, first 2 shown]
	v_fmac_f64_e32 v[248:249], s[8:9], v[40:41]
	v_fmac_f64_e32 v[122:123], s[16:17], v[120:121]
	v_add_f64 v[128:129], v[128:129], v[218:219]
	v_fmac_f64_e32 v[248:249], s[10:11], v[120:121]
	v_fmac_f64_e32 v[122:123], s[12:13], v[128:129]
	;; [unrolled: 1-line block ×3, first 2 shown]
	v_add_f64 v[128:129], v[24:25], v[36:37]
	v_fmac_f64_e32 v[42:43], -0.5, v[128:129]
	v_fma_f64 v[128:129], s[8:9], v[120:121], v[42:43]
	v_fmac_f64_e32 v[42:43], s[14:15], v[120:121]
	v_fmac_f64_e32 v[128:129], s[16:17], v[40:41]
	;; [unrolled: 1-line block ×3, first 2 shown]
	v_add_f64 v[40:41], v[44:45], v[26:27]
	v_add_f64 v[40:41], v[40:41], v[30:31]
	;; [unrolled: 1-line block ×3, first 2 shown]
	v_add_f64 v[218:219], v[28:29], -v[24:25]
	v_add_f64 v[222:223], v[32:33], -v[36:37]
	v_add_f64 v[250:251], v[40:41], v[38:39]
	v_add_f64 v[40:41], v[30:31], v[34:35]
	;; [unrolled: 1-line block ×4, first 2 shown]
	v_fma_f64 v[228:229], -0.5, v[40:41], v[44:45]
	v_add_f64 v[24:25], v[24:25], -v[36:37]
	v_fmac_f64_e32 v[128:129], s[12:13], v[218:219]
	v_fmac_f64_e32 v[42:43], s[12:13], v[218:219]
	v_fma_f64 v[218:219], s[8:9], v[24:25], v[228:229]
	v_add_f64 v[28:29], v[28:29], -v[32:33]
	v_add_f64 v[32:33], v[26:27], -v[30:31]
	;; [unrolled: 1-line block ×3, first 2 shown]
	v_fmac_f64_e32 v[228:229], s[14:15], v[24:25]
	v_fmac_f64_e32 v[218:219], s[10:11], v[28:29]
	v_add_f64 v[32:33], v[32:33], v[36:37]
	v_fmac_f64_e32 v[228:229], s[16:17], v[28:29]
	v_fmac_f64_e32 v[218:219], s[12:13], v[32:33]
	;; [unrolled: 1-line block ×3, first 2 shown]
	v_add_f64 v[32:33], v[26:27], v[38:39]
	v_fmac_f64_e32 v[44:45], -0.5, v[32:33]
	v_fma_f64 v[222:223], s[14:15], v[28:29], v[44:45]
	v_fmac_f64_e32 v[44:45], s[8:9], v[28:29]
	v_fmac_f64_e32 v[222:223], s[10:11], v[24:25]
	v_add_f64 v[26:27], v[30:31], -v[26:27]
	v_add_f64 v[30:31], v[34:35], -v[38:39]
	v_fmac_f64_e32 v[44:45], s[16:17], v[24:25]
	v_mul_f64 v[24:25], v[218:219], s[16:17]
	v_add_f64 v[8:9], v[8:9], v[232:233]
	v_add_f64 v[26:27], v[26:27], v[30:31]
	v_fmac_f64_e32 v[24:25], s[22:23], v[122:123]
	v_fmac_f64_e32 v[222:223], s[12:13], v[26:27]
	v_add_f64 v[28:29], v[54:55], v[24:25]
	v_add_f64 v[34:35], v[8:9], v[250:251]
	v_mul_f64 v[232:233], v[122:123], s[10:11]
	v_add_f64 v[24:25], v[54:55], -v[24:25]
	v_add_f64 v[54:55], v[8:9], -v[250:251]
	v_add_f64 v[8:9], v[80:81], v[104:105]
	v_fmac_f64_e32 v[44:45], s[12:13], v[26:27]
	v_mul_f64 v[26:27], v[222:223], s[14:15]
	v_fmac_f64_e32 v[232:233], s[22:23], v[218:219]
	v_mul_f64 v[218:219], v[222:223], s[12:13]
	v_add_f64 v[8:9], v[8:9], v[108:109]
	v_fmac_f64_e32 v[26:27], s[12:13], v[128:129]
	v_fmac_f64_e32 v[218:219], s[8:9], v[128:129]
	v_mul_f64 v[128:129], v[44:45], s[20:21]
	v_mul_f64 v[222:223], v[228:229], s[18:19]
	s_waitcnt lgkmcnt(13)
	v_add_f64 v[8:9], v[8:9], v[112:113]
	v_add_f64 v[32:33], v[10:11], v[52:53]
	v_mul_f64 v[226:227], v[44:45], s[14:15]
	v_mul_f64 v[230:231], v[228:229], s[16:17]
	v_fmac_f64_e32 v[128:129], s[8:9], v[42:43]
	v_fmac_f64_e32 v[222:223], s[10:11], v[248:249]
	v_add_f64 v[52:53], v[10:11], -v[52:53]
	s_waitcnt lgkmcnt(11)
	v_add_f64 v[10:11], v[8:9], v[116:117]
	v_add_f64 v[8:9], v[108:109], v[112:113]
	;; [unrolled: 1-line block ×3, first 2 shown]
	v_fmac_f64_e32 v[226:227], s[20:21], v[42:43]
	v_fmac_f64_e32 v[230:231], s[18:19], v[248:249]
	v_add_f64 v[30:31], v[62:63], v[232:233]
	v_add_f64 v[42:43], v[58:59], v[128:129]
	;; [unrolled: 1-line block ×3, first 2 shown]
	v_add_f64 v[44:45], v[60:61], -v[26:27]
	v_add_f64 v[26:27], v[62:63], -v[232:233]
	;; [unrolled: 1-line block ×4, first 2 shown]
	v_fma_f64 v[124:125], -0.5, v[8:9], v[80:81]
	v_add_f64 v[8:9], v[106:107], -v[118:119]
	v_add_f64 v[40:41], v[56:57], v[226:227]
	v_add_f64 v[36:37], v[46:47], v[230:231]
	;; [unrolled: 1-line block ×3, first 2 shown]
	v_add_f64 v[60:61], v[56:57], -v[226:227]
	v_add_f64 v[56:57], v[46:47], -v[230:231]
	v_add_f64 v[46:47], v[126:127], -v[218:219]
	v_fma_f64 v[252:253], s[14:15], v[8:9], v[124:125]
	v_add_f64 v[126:127], v[110:111], -v[114:115]
	v_add_f64 v[128:129], v[104:105], -v[108:109]
	;; [unrolled: 1-line block ×3, first 2 shown]
	v_fmac_f64_e32 v[124:125], s[8:9], v[8:9]
	v_fmac_f64_e32 v[252:253], s[16:17], v[126:127]
	v_add_f64 v[128:129], v[128:129], v[218:219]
	v_fmac_f64_e32 v[124:125], s[10:11], v[126:127]
	v_fmac_f64_e32 v[252:253], s[12:13], v[128:129]
	;; [unrolled: 1-line block ×3, first 2 shown]
	v_add_f64 v[128:129], v[104:105], v[116:117]
	v_fmac_f64_e32 v[80:81], -0.5, v[128:129]
	v_fma_f64 v[248:249], s[8:9], v[126:127], v[80:81]
	v_fmac_f64_e32 v[80:81], s[14:15], v[126:127]
	v_fmac_f64_e32 v[248:249], s[16:17], v[8:9]
	;; [unrolled: 1-line block ×3, first 2 shown]
	v_add_f64 v[8:9], v[82:83], v[106:107]
	v_add_f64 v[8:9], v[8:9], v[110:111]
	;; [unrolled: 1-line block ×5, first 2 shown]
	v_add_f64 v[128:129], v[108:109], -v[104:105]
	v_fma_f64 v[126:127], -0.5, v[8:9], v[82:83]
	v_add_f64 v[104:105], v[104:105], -v[116:117]
	v_add_f64 v[218:219], v[112:113], -v[116:117]
	v_fma_f64 v[8:9], s[8:9], v[104:105], v[126:127]
	v_add_f64 v[108:109], v[108:109], -v[112:113]
	v_add_f64 v[112:113], v[106:107], -v[110:111]
	;; [unrolled: 1-line block ×3, first 2 shown]
	v_fmac_f64_e32 v[126:127], s[14:15], v[104:105]
	v_fmac_f64_e32 v[8:9], s[10:11], v[108:109]
	v_add_f64 v[112:113], v[112:113], v[116:117]
	v_fmac_f64_e32 v[126:127], s[16:17], v[108:109]
	v_fmac_f64_e32 v[8:9], s[12:13], v[112:113]
	;; [unrolled: 1-line block ×3, first 2 shown]
	v_add_f64 v[112:113], v[106:107], v[118:119]
	v_fmac_f64_e32 v[82:83], -0.5, v[112:113]
	v_fma_f64 v[254:255], s[14:15], v[108:109], v[82:83]
	v_fmac_f64_e32 v[82:83], s[8:9], v[108:109]
	v_fmac_f64_e32 v[254:255], s[10:11], v[104:105]
	;; [unrolled: 1-line block ×3, first 2 shown]
	v_add_f64 v[104:105], v[84:85], v[88:89]
	v_add_f64 v[104:105], v[104:105], v[92:93]
	;; [unrolled: 1-line block ×3, first 2 shown]
	v_add_f64 v[106:107], v[110:111], -v[106:107]
	v_add_f64 v[110:111], v[114:115], -v[118:119]
	s_waitcnt lgkmcnt(10)
	v_add_f64 v[108:109], v[104:105], v[100:101]
	v_add_f64 v[104:105], v[92:93], v[96:97]
	;; [unrolled: 1-line block ×3, first 2 shown]
	v_fma_f64 v[110:111], -0.5, v[104:105], v[84:85]
	v_add_f64 v[104:105], v[90:91], -v[102:103]
	v_fmac_f64_e32 v[254:255], s[12:13], v[106:107]
	v_fmac_f64_e32 v[82:83], s[12:13], v[106:107]
	v_fma_f64 v[106:107], s[14:15], v[104:105], v[110:111]
	v_add_f64 v[112:113], v[94:95], -v[98:99]
	v_add_f64 v[114:115], v[88:89], -v[92:93]
	;; [unrolled: 1-line block ×3, first 2 shown]
	v_fmac_f64_e32 v[110:111], s[8:9], v[104:105]
	v_fmac_f64_e32 v[106:107], s[16:17], v[112:113]
	v_add_f64 v[114:115], v[114:115], v[116:117]
	v_fmac_f64_e32 v[110:111], s[10:11], v[112:113]
	v_fmac_f64_e32 v[106:107], s[12:13], v[114:115]
	;; [unrolled: 1-line block ×3, first 2 shown]
	v_add_f64 v[114:115], v[88:89], v[100:101]
	v_fmac_f64_e32 v[84:85], -0.5, v[114:115]
	v_fma_f64 v[116:117], s[8:9], v[112:113], v[84:85]
	v_fmac_f64_e32 v[84:85], s[14:15], v[112:113]
	v_fmac_f64_e32 v[116:117], s[16:17], v[104:105]
	v_fmac_f64_e32 v[84:85], s[10:11], v[104:105]
	v_add_f64 v[104:105], v[86:87], v[90:91]
	v_add_f64 v[114:115], v[92:93], -v[88:89]
	v_add_f64 v[118:119], v[96:97], -v[100:101]
	v_add_f64 v[104:105], v[104:105], v[94:95]
	v_add_f64 v[114:115], v[114:115], v[118:119]
	;; [unrolled: 1-line block ×3, first 2 shown]
	v_fmac_f64_e32 v[116:117], s[12:13], v[114:115]
	v_fmac_f64_e32 v[84:85], s[12:13], v[114:115]
	v_add_f64 v[114:115], v[104:105], v[102:103]
	v_add_f64 v[104:105], v[94:95], v[98:99]
	v_fma_f64 v[112:113], -0.5, v[104:105], v[86:87]
	v_add_f64 v[88:89], v[88:89], -v[100:101]
	v_fma_f64 v[118:119], s[8:9], v[88:89], v[112:113]
	v_add_f64 v[92:93], v[92:93], -v[96:97]
	v_add_f64 v[96:97], v[90:91], -v[94:95]
	;; [unrolled: 1-line block ×3, first 2 shown]
	v_fmac_f64_e32 v[112:113], s[14:15], v[88:89]
	v_fmac_f64_e32 v[118:119], s[10:11], v[92:93]
	v_add_f64 v[96:97], v[96:97], v[100:101]
	v_fmac_f64_e32 v[112:113], s[16:17], v[92:93]
	v_fmac_f64_e32 v[118:119], s[12:13], v[96:97]
	;; [unrolled: 1-line block ×3, first 2 shown]
	v_add_f64 v[96:97], v[90:91], v[102:103]
	v_add_f64 v[128:129], v[128:129], v[218:219]
	v_fmac_f64_e32 v[86:87], -0.5, v[96:97]
	v_mul_f64 v[230:231], v[106:107], s[10:11]
	v_fmac_f64_e32 v[248:249], s[12:13], v[128:129]
	v_fmac_f64_e32 v[80:81], s[12:13], v[128:129]
	v_fma_f64 v[128:129], s[14:15], v[92:93], v[86:87]
	v_add_f64 v[90:91], v[94:95], -v[90:91]
	v_add_f64 v[94:95], v[98:99], -v[102:103]
	v_fmac_f64_e32 v[86:87], s[8:9], v[92:93]
	v_mul_f64 v[228:229], v[112:113], s[16:17]
	v_fmac_f64_e32 v[230:231], s[22:23], v[118:119]
	v_mul_f64 v[232:233], v[112:113], s[18:19]
	v_add_f64 v[90:91], v[90:91], v[94:95]
	v_fmac_f64_e32 v[86:87], s[16:17], v[88:89]
	v_fmac_f64_e32 v[228:229], s[18:19], v[110:111]
	v_add_f64 v[94:95], v[8:9], v[230:231]
	v_fmac_f64_e32 v[232:233], s[10:11], v[110:111]
	v_add_f64 v[110:111], v[8:9], -v[230:231]
	s_waitcnt lgkmcnt(7)
	v_add_f64 v[8:9], v[0:1], v[64:65]
	v_fmac_f64_e32 v[128:129], s[10:11], v[88:89]
	v_fmac_f64_e32 v[86:87], s[12:13], v[90:91]
	v_mul_f64 v[218:219], v[118:119], s[16:17]
	s_waitcnt lgkmcnt(5)
	v_add_f64 v[8:9], v[8:9], v[68:69]
	v_fmac_f64_e32 v[128:129], s[12:13], v[90:91]
	v_fmac_f64_e32 v[218:219], s[22:23], v[106:107]
	v_mul_f64 v[226:227], v[86:87], s[14:15]
	s_waitcnt lgkmcnt(3)
	v_add_f64 v[8:9], v[8:9], v[72:73]
	v_add_f64 v[96:97], v[10:11], v[108:109]
	;; [unrolled: 1-line block ×3, first 2 shown]
	v_mul_f64 v[222:223], v[128:129], s[14:15]
	v_fmac_f64_e32 v[226:227], s[20:21], v[84:85]
	v_mul_f64 v[118:119], v[128:129], s[12:13]
	v_mul_f64 v[128:129], v[86:87], s[20:21]
	v_add_f64 v[112:113], v[10:11], -v[108:109]
	v_add_f64 v[108:109], v[252:253], -v[218:219]
	s_waitcnt lgkmcnt(1)
	v_add_f64 v[252:253], v[8:9], v[76:77]
	v_add_f64 v[8:9], v[68:69], v[72:73]
	v_fmac_f64_e32 v[222:223], s[12:13], v[116:117]
	v_add_f64 v[104:105], v[80:81], v[226:227]
	v_add_f64 v[100:101], v[124:125], v[228:229]
	v_fmac_f64_e32 v[118:119], s[8:9], v[116:117]
	v_fmac_f64_e32 v[128:129], s[8:9], v[84:85]
	v_add_f64 v[116:117], v[80:81], -v[226:227]
	v_add_f64 v[80:81], v[124:125], -v[228:229]
	v_fma_f64 v[124:125], -0.5, v[8:9], v[0:1]
	v_add_f64 v[8:9], v[66:67], -v[78:79]
	v_add_f64 v[90:91], v[254:255], v[118:119]
	v_add_f64 v[106:107], v[82:83], v[128:129]
	;; [unrolled: 1-line block ×3, first 2 shown]
	v_add_f64 v[86:87], v[254:255], -v[118:119]
	v_add_f64 v[118:119], v[82:83], -v[128:129]
	;; [unrolled: 1-line block ×3, first 2 shown]
	v_fma_f64 v[254:255], s[14:15], v[8:9], v[124:125]
	v_add_f64 v[126:127], v[70:71], -v[74:75]
	v_add_f64 v[10:11], v[64:65], -v[68:69]
	v_add_f64 v[128:129], v[76:77], -v[72:73]
	v_fmac_f64_e32 v[124:125], s[8:9], v[8:9]
	v_fmac_f64_e32 v[254:255], s[16:17], v[126:127]
	v_add_f64 v[10:11], v[10:11], v[128:129]
	v_fmac_f64_e32 v[124:125], s[10:11], v[126:127]
	v_fmac_f64_e32 v[254:255], s[12:13], v[10:11]
	v_fmac_f64_e32 v[124:125], s[12:13], v[10:11]
	v_add_f64 v[10:11], v[64:65], v[76:77]
	v_fmac_f64_e32 v[0:1], -0.5, v[10:11]
	v_fma_f64 v[10:11], s[8:9], v[126:127], v[0:1]
	v_fmac_f64_e32 v[0:1], s[14:15], v[126:127]
	v_fmac_f64_e32 v[10:11], s[16:17], v[8:9]
	;; [unrolled: 1-line block ×3, first 2 shown]
	v_add_f64 v[8:9], v[2:3], v[66:67]
	v_add_f64 v[8:9], v[8:9], v[70:71]
	;; [unrolled: 1-line block ×4, first 2 shown]
	v_add_f64 v[84:85], v[248:249], -v[222:223]
	v_add_f64 v[248:249], v[8:9], v[78:79]
	v_add_f64 v[8:9], v[70:71], v[74:75]
	v_add_f64 v[128:129], v[68:69], -v[64:65]
	v_fma_f64 v[126:127], -0.5, v[8:9], v[2:3]
	v_add_f64 v[64:65], v[64:65], -v[76:77]
	v_add_f64 v[98:99], v[250:251], v[114:115]
	v_add_f64 v[114:115], v[250:251], -v[114:115]
	v_add_f64 v[218:219], v[72:73], -v[76:77]
	v_fma_f64 v[250:251], s[8:9], v[64:65], v[126:127]
	v_add_f64 v[68:69], v[68:69], -v[72:73]
	v_add_f64 v[8:9], v[66:67], -v[70:71]
	;; [unrolled: 1-line block ×3, first 2 shown]
	v_fmac_f64_e32 v[126:127], s[14:15], v[64:65]
	v_fmac_f64_e32 v[250:251], s[10:11], v[68:69]
	v_add_f64 v[8:9], v[8:9], v[72:73]
	v_fmac_f64_e32 v[126:127], s[16:17], v[68:69]
	v_fmac_f64_e32 v[250:251], s[12:13], v[8:9]
	v_fmac_f64_e32 v[126:127], s[12:13], v[8:9]
	v_add_f64 v[8:9], v[66:67], v[78:79]
	v_fmac_f64_e32 v[2:3], -0.5, v[8:9]
	v_fma_f64 v[8:9], s[14:15], v[68:69], v[2:3]
	v_fmac_f64_e32 v[2:3], s[8:9], v[68:69]
	v_fmac_f64_e32 v[8:9], s[10:11], v[64:65]
	;; [unrolled: 1-line block ×3, first 2 shown]
	v_add_f64 v[64:65], v[4:5], v[48:49]
	v_add_f64 v[64:65], v[64:65], v[12:13]
	;; [unrolled: 1-line block ×3, first 2 shown]
	v_add_f64 v[66:67], v[70:71], -v[66:67]
	v_add_f64 v[70:71], v[74:75], -v[78:79]
	s_waitcnt lgkmcnt(0)
	v_add_f64 v[68:69], v[64:65], v[20:21]
	v_add_f64 v[64:65], v[12:13], v[16:17]
	;; [unrolled: 1-line block ×3, first 2 shown]
	v_fma_f64 v[70:71], -0.5, v[64:65], v[4:5]
	v_add_f64 v[64:65], v[50:51], -v[22:23]
	v_fmac_f64_e32 v[8:9], s[12:13], v[66:67]
	v_fmac_f64_e32 v[2:3], s[12:13], v[66:67]
	v_fma_f64 v[66:67], s[14:15], v[64:65], v[70:71]
	v_add_f64 v[72:73], v[14:15], -v[18:19]
	v_add_f64 v[74:75], v[48:49], -v[12:13]
	;; [unrolled: 1-line block ×3, first 2 shown]
	v_fmac_f64_e32 v[70:71], s[8:9], v[64:65]
	v_fmac_f64_e32 v[66:67], s[16:17], v[72:73]
	v_add_f64 v[74:75], v[74:75], v[76:77]
	v_fmac_f64_e32 v[70:71], s[10:11], v[72:73]
	v_fmac_f64_e32 v[66:67], s[12:13], v[74:75]
	;; [unrolled: 1-line block ×3, first 2 shown]
	v_add_f64 v[74:75], v[48:49], v[20:21]
	v_fmac_f64_e32 v[4:5], -0.5, v[74:75]
	v_fma_f64 v[76:77], s[8:9], v[72:73], v[4:5]
	v_fmac_f64_e32 v[4:5], s[14:15], v[72:73]
	v_fmac_f64_e32 v[76:77], s[16:17], v[64:65]
	v_fmac_f64_e32 v[4:5], s[10:11], v[64:65]
	v_add_f64 v[64:65], v[6:7], v[50:51]
	v_add_f64 v[74:75], v[12:13], -v[48:49]
	v_add_f64 v[78:79], v[16:17], -v[20:21]
	v_add_f64 v[64:65], v[64:65], v[14:15]
	v_add_f64 v[74:75], v[74:75], v[78:79]
	;; [unrolled: 1-line block ×3, first 2 shown]
	v_fmac_f64_e32 v[76:77], s[12:13], v[74:75]
	v_fmac_f64_e32 v[4:5], s[12:13], v[74:75]
	v_add_f64 v[74:75], v[64:65], v[22:23]
	v_add_f64 v[64:65], v[14:15], v[18:19]
	v_fma_f64 v[72:73], -0.5, v[64:65], v[6:7]
	v_add_f64 v[20:21], v[48:49], -v[20:21]
	v_fma_f64 v[78:79], s[8:9], v[20:21], v[72:73]
	v_add_f64 v[12:13], v[12:13], -v[16:17]
	v_add_f64 v[16:17], v[50:51], -v[14:15]
	;; [unrolled: 1-line block ×3, first 2 shown]
	v_fmac_f64_e32 v[72:73], s[14:15], v[20:21]
	v_fmac_f64_e32 v[78:79], s[10:11], v[12:13]
	v_add_f64 v[16:17], v[16:17], v[48:49]
	v_fmac_f64_e32 v[72:73], s[16:17], v[12:13]
	v_fmac_f64_e32 v[78:79], s[12:13], v[16:17]
	;; [unrolled: 1-line block ×3, first 2 shown]
	v_add_f64 v[16:17], v[50:51], v[22:23]
	v_add_f64 v[128:129], v[128:129], v[218:219]
	v_fmac_f64_e32 v[6:7], -0.5, v[16:17]
	v_fmac_f64_e32 v[10:11], s[12:13], v[128:129]
	v_fmac_f64_e32 v[0:1], s[12:13], v[128:129]
	v_fma_f64 v[128:129], s[14:15], v[12:13], v[6:7]
	v_add_f64 v[14:15], v[14:15], -v[50:51]
	v_add_f64 v[16:17], v[18:19], -v[22:23]
	v_fmac_f64_e32 v[6:7], s[8:9], v[12:13]
	v_fmac_f64_e32 v[128:129], s[10:11], v[20:21]
	v_add_f64 v[14:15], v[14:15], v[16:17]
	v_fmac_f64_e32 v[6:7], s[16:17], v[20:21]
	v_fmac_f64_e32 v[128:129], s[12:13], v[14:15]
	;; [unrolled: 1-line block ×3, first 2 shown]
	v_mul_f64 v[230:231], v[66:67], s[10:11]
	v_mul_f64 v[218:219], v[78:79], s[16:17]
	;; [unrolled: 1-line block ×5, first 2 shown]
	v_fmac_f64_e32 v[230:231], s[22:23], v[78:79]
	v_mul_f64 v[78:79], v[128:129], s[12:13]
	v_mul_f64 v[128:129], v[6:7], s[20:21]
	;; [unrolled: 1-line block ×3, first 2 shown]
	v_fmac_f64_e32 v[218:219], s[22:23], v[66:67]
	v_fmac_f64_e32 v[222:223], s[12:13], v[76:77]
	;; [unrolled: 1-line block ×7, first 2 shown]
	v_add_f64 v[16:17], v[252:253], v[68:69]
	v_add_f64 v[12:13], v[254:255], v[218:219]
	;; [unrolled: 1-line block ×10, first 2 shown]
	v_add_f64 v[72:73], v[252:253], -v[68:69]
	v_add_f64 v[68:69], v[254:255], -v[218:219]
	;; [unrolled: 1-line block ×10, first 2 shown]
	s_barrier
	ds_write_b128 v238, v[32:35]
	ds_write_b128 v238, v[28:31] offset:16
	ds_write_b128 v238, v[120:123] offset:32
	ds_write_b128 v238, v[40:43] offset:48
	ds_write_b128 v238, v[36:39] offset:64
	ds_write_b128 v238, v[52:55] offset:80
	ds_write_b128 v238, v[24:27] offset:96
	ds_write_b128 v238, v[44:47] offset:112
	ds_write_b128 v238, v[60:63] offset:128
	ds_write_b128 v238, v[56:59] offset:144
	ds_write_b128 v239, v[96:99]
	ds_write_b128 v239, v[92:95] offset:16
	ds_write_b128 v239, v[88:91] offset:32
	ds_write_b128 v239, v[104:107] offset:48
	ds_write_b128 v239, v[100:103] offset:64
	ds_write_b128 v239, v[112:115] offset:80
	ds_write_b128 v239, v[108:111] offset:96
	ds_write_b128 v239, v[84:87] offset:112
	ds_write_b128 v239, v[116:119] offset:128
	ds_write_b128 v239, v[80:83] offset:144
	;; [unrolled: 10-line block ×3, first 2 shown]
	s_waitcnt lgkmcnt(0)
	s_barrier
	ds_read_b128 v[0:3], v220
	ds_read_b128 v[116:119], v220 offset:12960
	ds_read_b128 v[112:115], v220 offset:25920
	;; [unrolled: 1-line block ×29, first 2 shown]
	scratch_load_dwordx4 v[36:39], off, off offset:624 ; 16-byte Folded Reload
	scratch_load_dwordx4 v[44:47], off, off offset:608 ; 16-byte Folded Reload
	s_waitcnt vmcnt(1) lgkmcnt(14)
	v_mul_f64 v[230:231], v[38:39], v[118:119]
	v_mul_f64 v[28:29], v[38:39], v[116:117]
	v_fmac_f64_e32 v[230:231], v[36:37], v[116:117]
	v_fma_f64 v[36:37], v[36:37], v[118:119], -v[28:29]
	s_waitcnt vmcnt(0)
	v_mul_f64 v[228:229], v[46:47], v[114:115]
	v_mul_f64 v[28:29], v[46:47], v[112:113]
	v_fmac_f64_e32 v[228:229], v[44:45], v[112:113]
	v_fma_f64 v[232:233], v[44:45], v[114:115], -v[28:29]
	scratch_load_dwordx4 v[44:47], off, off offset:556 ; 16-byte Folded Reload
	s_waitcnt vmcnt(0)
	v_mul_f64 v[30:31], v[46:47], v[110:111]
	v_mul_f64 v[28:29], v[46:47], v[108:109]
	v_fmac_f64_e32 v[30:31], v[44:45], v[108:109]
	v_fma_f64 v[28:29], v[44:45], v[110:111], -v[28:29]
	scratch_load_dwordx4 v[44:47], off, off offset:540 ; 16-byte Folded Reload
	;; [unrolled: 6-line block ×10, first 2 shown]
	s_waitcnt vmcnt(0)
	v_mul_f64 v[38:39], v[80:81], v[74:75]
	v_fmac_f64_e32 v[38:39], v[78:79], v[72:73]
	v_mul_f64 v[72:73], v[80:81], v[72:73]
	v_fma_f64 v[72:73], v[78:79], v[74:75], -v[72:73]
	scratch_load_dwordx4 v[78:81], off, off offset:768 ; 16-byte Folded Reload
	s_waitcnt vmcnt(0) lgkmcnt(13)
	v_mul_f64 v[74:75], v[80:81], v[70:71]
	v_fmac_f64_e32 v[74:75], v[78:79], v[68:69]
	v_mul_f64 v[68:69], v[80:81], v[68:69]
	v_fma_f64 v[80:81], v[78:79], v[70:71], -v[68:69]
	scratch_load_dwordx4 v[68:71], off, off offset:784 ; 16-byte Folded Reload
	s_waitcnt vmcnt(0) lgkmcnt(12)
	;; [unrolled: 6-line block ×7, first 2 shown]
	v_mul_f64 v[116:117], v[50:51], v[42:43]
	v_fmac_f64_e32 v[116:117], v[48:49], v[40:41]
	v_mul_f64 v[40:41], v[50:51], v[40:41]
	v_fma_f64 v[40:41], v[48:49], v[42:43], -v[40:41]
	scratch_load_dwordx4 v[48:51], off, off offset:888 ; 16-byte Folded Reload
	s_waitcnt lgkmcnt(0)
	s_barrier
	s_waitcnt vmcnt(0)
	v_mul_f64 v[118:119], v[50:51], v[34:35]
	v_fmac_f64_e32 v[118:119], v[48:49], v[32:33]
	v_mul_f64 v[32:33], v[50:51], v[32:33]
	v_fma_f64 v[42:43], v[48:49], v[34:35], -v[32:33]
	v_accvgpr_read_b32 v32, a204
	v_accvgpr_read_b32 v34, a206
	v_accvgpr_read_b32 v35, a207
	v_accvgpr_read_b32 v33, a205
	v_mul_f64 v[90:91], v[34:35], v[26:27]
	v_fmac_f64_e32 v[90:91], v[32:33], v[24:25]
	v_mul_f64 v[24:25], v[34:35], v[24:25]
	v_fma_f64 v[70:71], v[32:33], v[26:27], -v[24:25]
	v_accvgpr_read_b32 v24, a208
	v_accvgpr_read_b32 v26, a210
	v_accvgpr_read_b32 v27, a211
	v_accvgpr_read_b32 v25, a209
	;; [unrolled: 8-line block ×4, first 2 shown]
	v_mul_f64 v[250:251], v[10:11], v[6:7]
	v_fmac_f64_e32 v[250:251], v[8:9], v[4:5]
	v_mul_f64 v[4:5], v[10:11], v[4:5]
	v_fma_f64 v[64:65], v[8:9], v[6:7], -v[4:5]
	v_add_f64 v[4:5], v[0:1], v[230:231]
	v_add_f64 v[4:5], v[4:5], v[228:229]
	v_add_f64 v[4:5], v[4:5], v[30:31]
	v_add_f64 v[96:97], v[4:5], v[226:227]
	v_add_f64 v[4:5], v[228:229], v[30:31]
	v_fma_f64 v[4:5], -0.5, v[4:5], v[0:1]
	v_add_f64 v[6:7], v[36:37], -v[100:101]
	v_fma_f64 v[48:49], s[14:15], v[6:7], v[4:5]
	v_add_f64 v[8:9], v[232:233], -v[28:29]
	v_add_f64 v[10:11], v[230:231], -v[228:229]
	v_add_f64 v[16:17], v[226:227], -v[30:31]
	v_fmac_f64_e32 v[4:5], s[8:9], v[6:7]
	v_fmac_f64_e32 v[48:49], s[16:17], v[8:9]
	v_add_f64 v[10:11], v[10:11], v[16:17]
	v_fmac_f64_e32 v[4:5], s[10:11], v[8:9]
	v_fmac_f64_e32 v[48:49], s[12:13], v[10:11]
	v_fmac_f64_e32 v[4:5], s[12:13], v[10:11]
	v_add_f64 v[10:11], v[230:231], v[226:227]
	v_fmac_f64_e32 v[0:1], -0.5, v[10:11]
	v_fma_f64 v[56:57], s[8:9], v[8:9], v[0:1]
	v_fmac_f64_e32 v[0:1], s[14:15], v[8:9]
	v_fmac_f64_e32 v[56:57], s[16:17], v[6:7]
	v_fmac_f64_e32 v[0:1], s[10:11], v[6:7]
	v_add_f64 v[6:7], v[2:3], v[36:37]
	v_add_f64 v[6:7], v[6:7], v[232:233]
	v_add_f64 v[6:7], v[6:7], v[28:29]
	v_add_f64 v[10:11], v[228:229], -v[230:231]
	v_add_f64 v[16:17], v[30:31], -v[226:227]
	v_add_f64 v[98:99], v[6:7], v[100:101]
	v_add_f64 v[6:7], v[232:233], v[28:29]
	v_add_f64 v[10:11], v[10:11], v[16:17]
	v_fma_f64 v[6:7], -0.5, v[6:7], v[2:3]
	v_add_f64 v[8:9], v[230:231], -v[226:227]
	v_fmac_f64_e32 v[56:57], s[12:13], v[10:11]
	v_fmac_f64_e32 v[0:1], s[12:13], v[10:11]
	v_fma_f64 v[50:51], s[8:9], v[8:9], v[6:7]
	v_add_f64 v[10:11], v[228:229], -v[30:31]
	v_add_f64 v[16:17], v[36:37], -v[232:233]
	v_add_f64 v[18:19], v[100:101], -v[28:29]
	v_fmac_f64_e32 v[6:7], s[14:15], v[8:9]
	v_fmac_f64_e32 v[50:51], s[10:11], v[10:11]
	v_add_f64 v[16:17], v[16:17], v[18:19]
	v_fmac_f64_e32 v[6:7], s[16:17], v[10:11]
	v_fmac_f64_e32 v[50:51], s[12:13], v[16:17]
	v_fmac_f64_e32 v[6:7], s[12:13], v[16:17]
	v_add_f64 v[16:17], v[36:37], v[100:101]
	v_fmac_f64_e32 v[2:3], -0.5, v[16:17]
	v_fma_f64 v[58:59], s[14:15], v[10:11], v[2:3]
	v_fmac_f64_e32 v[2:3], s[8:9], v[10:11]
	v_fmac_f64_e32 v[58:59], s[10:11], v[8:9]
	v_fmac_f64_e32 v[2:3], s[16:17], v[8:9]
	v_add_f64 v[8:9], v[12:13], v[240:241]
	v_add_f64 v[8:9], v[8:9], v[238:239]
	v_add_f64 v[8:9], v[8:9], v[46:47]
	v_add_f64 v[16:17], v[232:233], -v[36:37]
	v_add_f64 v[18:19], v[28:29], -v[100:101]
	v_add_f64 v[100:101], v[8:9], v[234:235]
	v_add_f64 v[8:9], v[238:239], v[46:47]
	v_add_f64 v[16:17], v[16:17], v[18:19]
	v_fma_f64 v[8:9], -0.5, v[8:9], v[12:13]
	v_add_f64 v[10:11], v[104:105], -v[236:237]
	v_fmac_f64_e32 v[58:59], s[12:13], v[16:17]
	v_fmac_f64_e32 v[2:3], s[12:13], v[16:17]
	;; [unrolled: 28-line block ×7, first 2 shown]
	v_fma_f64 v[74:75], s[8:9], v[28:29], v[26:27]
	v_add_f64 v[30:31], v[78:79], -v[252:253]
	v_add_f64 v[32:33], v[80:81], -v[84:85]
	v_add_f64 v[34:35], v[114:115], -v[112:113]
	v_fmac_f64_e32 v[26:27], s[14:15], v[28:29]
	v_fmac_f64_e32 v[74:75], s[10:11], v[30:31]
	v_add_f64 v[32:33], v[32:33], v[34:35]
	v_fmac_f64_e32 v[26:27], s[16:17], v[30:31]
	v_fmac_f64_e32 v[74:75], s[12:13], v[32:33]
	v_fmac_f64_e32 v[26:27], s[12:13], v[32:33]
	v_add_f64 v[32:33], v[80:81], v[114:115]
	v_fmac_f64_e32 v[122:123], -0.5, v[32:33]
	v_fma_f64 v[78:79], s[14:15], v[30:31], v[122:123]
	v_fmac_f64_e32 v[122:123], s[8:9], v[30:31]
	v_fmac_f64_e32 v[78:79], s[10:11], v[28:29]
	v_fmac_f64_e32 v[122:123], s[16:17], v[28:29]
	v_add_f64 v[28:29], v[124:125], v[82:83]
	v_add_f64 v[28:29], v[28:29], v[86:87]
	v_add_f64 v[32:33], v[84:85], -v[80:81]
	v_add_f64 v[34:35], v[112:113], -v[114:115]
	v_add_f64 v[28:29], v[28:29], v[116:117]
	v_add_f64 v[32:33], v[32:33], v[34:35]
	v_add_f64 v[112:113], v[28:29], v[118:119]
	v_add_f64 v[28:29], v[86:87], v[116:117]
	v_fmac_f64_e32 v[78:79], s[12:13], v[32:33]
	v_fmac_f64_e32 v[122:123], s[12:13], v[32:33]
	v_fma_f64 v[32:33], -0.5, v[28:29], v[124:125]
	v_add_f64 v[28:29], v[88:89], -v[42:43]
	v_fma_f64 v[80:81], s[14:15], v[28:29], v[32:33]
	v_add_f64 v[30:31], v[92:93], -v[40:41]
	v_add_f64 v[34:35], v[82:83], -v[86:87]
	v_add_f64 v[44:45], v[118:119], -v[116:117]
	v_fmac_f64_e32 v[32:33], s[8:9], v[28:29]
	v_fmac_f64_e32 v[80:81], s[16:17], v[30:31]
	v_add_f64 v[34:35], v[34:35], v[44:45]
	v_fmac_f64_e32 v[32:33], s[10:11], v[30:31]
	v_fmac_f64_e32 v[80:81], s[12:13], v[34:35]
	v_fmac_f64_e32 v[32:33], s[12:13], v[34:35]
	v_add_f64 v[34:35], v[82:83], v[118:119]
	v_fmac_f64_e32 v[124:125], -0.5, v[34:35]
	v_fma_f64 v[84:85], s[8:9], v[30:31], v[124:125]
	v_fmac_f64_e32 v[124:125], s[14:15], v[30:31]
	v_fmac_f64_e32 v[84:85], s[16:17], v[28:29]
	v_fmac_f64_e32 v[124:125], s[10:11], v[28:29]
	v_add_f64 v[28:29], v[126:127], v[88:89]
	v_add_f64 v[28:29], v[28:29], v[92:93]
	v_add_f64 v[34:35], v[86:87], -v[82:83]
	v_add_f64 v[44:45], v[116:117], -v[118:119]
	v_add_f64 v[28:29], v[28:29], v[40:41]
	v_add_f64 v[34:35], v[34:35], v[44:45]
	v_add_f64 v[114:115], v[28:29], v[42:43]
	v_add_f64 v[28:29], v[92:93], v[40:41]
	v_fmac_f64_e32 v[84:85], s[12:13], v[34:35]
	v_fmac_f64_e32 v[124:125], s[12:13], v[34:35]
	v_fma_f64 v[34:35], -0.5, v[28:29], v[126:127]
	v_add_f64 v[28:29], v[82:83], -v[118:119]
	;; [unrolled: 28-line block ×4, first 2 shown]
	v_fma_f64 v[90:91], s[8:9], v[28:29], v[42:43]
	v_add_f64 v[30:31], v[94:95], -v[248:249]
	v_add_f64 v[44:45], v[70:71], -v[68:69]
	;; [unrolled: 1-line block ×3, first 2 shown]
	v_fmac_f64_e32 v[42:43], s[14:15], v[28:29]
	v_fmac_f64_e32 v[90:91], s[10:11], v[30:31]
	v_add_f64 v[44:45], v[44:45], v[46:47]
	v_fmac_f64_e32 v[42:43], s[16:17], v[30:31]
	v_fmac_f64_e32 v[90:91], s[12:13], v[44:45]
	;; [unrolled: 1-line block ×3, first 2 shown]
	v_add_f64 v[44:45], v[70:71], v[64:65]
	v_fmac_f64_e32 v[130:131], -0.5, v[44:45]
	v_fma_f64 v[94:95], s[14:15], v[30:31], v[130:131]
	v_fmac_f64_e32 v[130:131], s[8:9], v[30:31]
	v_fmac_f64_e32 v[94:95], s[10:11], v[28:29]
	;; [unrolled: 1-line block ×3, first 2 shown]
	scratch_load_dword v28, off, off        ; 4-byte Folded Reload
	s_waitcnt vmcnt(0)
	ds_write_b128 v28, v[96:99]
	ds_write_b128 v28, v[48:51] offset:160
	ds_write_b128 v28, v[56:59] offset:320
	ds_write_b128 v28, v[0:3] offset:480
	ds_write_b128 v28, v[4:7] offset:640
	scratch_load_dword v0, off, off offset:4 ; 4-byte Folded Reload
	s_waitcnt vmcnt(0)
	ds_write_b128 v0, v[100:103]
	ds_write_b128 v0, v[52:55] offset:160
	ds_write_b128 v0, v[60:63] offset:320
	ds_write_b128 v0, v[12:15] offset:480
	ds_write_b128 v0, v[8:11] offset:640
	scratch_load_dword v0, off, off offset:8 ; 4-byte Folded Reload
	;; [unrolled: 7-line block ×4, first 2 shown]
	v_add_f64 v[44:45], v[68:69], -v[70:71]
	v_add_f64 v[46:47], v[66:67], -v[64:65]
	v_add_f64 v[44:45], v[44:45], v[46:47]
	v_fmac_f64_e32 v[94:95], s[12:13], v[44:45]
	v_fmac_f64_e32 v[130:131], s[12:13], v[44:45]
	s_waitcnt vmcnt(0)
	ds_write_b128 v0, v[112:115]
	ds_write_b128 v0, v[80:83] offset:160
	ds_write_b128 v0, v[84:87] offset:320
	;; [unrolled: 1-line block ×4, first 2 shown]
	ds_write_b128 v133, v[116:119]
	ds_write_b128 v133, v[88:91] offset:160
	ds_write_b128 v133, v[92:95] offset:320
	;; [unrolled: 1-line block ×4, first 2 shown]
	v_accvgpr_read_b32 v122, a220
	v_accvgpr_read_b32 v124, a222
	;; [unrolled: 1-line block ×3, first 2 shown]
	s_waitcnt lgkmcnt(0)
	s_barrier
	ds_read_b128 v[36:39], v220
	ds_read_b128 v[116:119], v220 offset:21600
	ds_read_b128 v[112:115], v220 offset:43200
	;; [unrolled: 1-line block ×29, first 2 shown]
	v_accvgpr_read_b32 v123, a221
	s_waitcnt lgkmcnt(14)
	v_mul_f64 v[120:121], v[124:125], v[118:119]
	v_fmac_f64_e32 v[120:121], v[122:123], v[116:117]
	v_mul_f64 v[116:117], v[124:125], v[116:117]
	v_fma_f64 v[122:123], v[122:123], v[118:119], -v[116:117]
	v_accvgpr_read_b32 v116, a224
	v_accvgpr_read_b32 v118, a226
	v_accvgpr_read_b32 v119, a227
	v_accvgpr_read_b32 v117, a225
	v_mul_f64 v[124:125], v[118:119], v[114:115]
	v_fmac_f64_e32 v[124:125], v[116:117], v[112:113]
	v_mul_f64 v[112:113], v[118:119], v[112:113]
	v_fma_f64 v[112:113], v[116:117], v[114:115], -v[112:113]
	v_accvgpr_read_b32 v114, a230
	v_accvgpr_read_b32 v116, a232
	v_accvgpr_read_b32 v117, a233
	v_accvgpr_read_b32 v115, a231
	v_mul_f64 v[126:127], v[116:117], v[110:111]
	v_fmac_f64_e32 v[126:127], v[114:115], v[108:109]
	v_mul_f64 v[108:109], v[116:117], v[108:109]
	v_fma_f64 v[128:129], v[114:115], v[110:111], -v[108:109]
	v_accvgpr_read_b32 v108, a238
	v_accvgpr_read_b32 v110, a240
	v_accvgpr_read_b32 v111, a241
	v_accvgpr_read_b32 v109, a239
	v_mul_f64 v[130:131], v[110:111], v[106:107]
	v_fmac_f64_e32 v[130:131], v[108:109], v[104:105]
	v_mul_f64 v[104:105], v[110:111], v[104:105]
	v_fma_f64 v[106:107], v[108:109], v[106:107], -v[104:105]
	v_accvgpr_read_b32 v108, a242
	v_accvgpr_read_b32 v110, a244
	v_accvgpr_read_b32 v111, a245
	v_accvgpr_read_b32 v109, a243
	v_mul_f64 v[218:219], v[110:111], v[102:103]
	v_fmac_f64_e32 v[218:219], v[108:109], v[100:101]
	v_mul_f64 v[100:101], v[110:111], v[100:101]
	v_fma_f64 v[222:223], v[108:109], v[102:103], -v[100:101]
	v_accvgpr_read_b32 v100, a246
	v_accvgpr_read_b32 v102, a248
	v_accvgpr_read_b32 v103, a249
	v_accvgpr_read_b32 v101, a247
	v_mul_f64 v[226:227], v[102:103], v[98:99]
	v_fmac_f64_e32 v[226:227], v[100:101], v[96:97]
	v_mul_f64 v[96:97], v[102:103], v[96:97]
	v_fma_f64 v[98:99], v[100:101], v[98:99], -v[96:97]
	v_accvgpr_read_b32 v100, a250
	v_accvgpr_read_b32 v102, a252
	v_accvgpr_read_b32 v103, a253
	v_accvgpr_read_b32 v101, a251
	v_mul_f64 v[228:229], v[102:103], v[94:95]
	v_fmac_f64_e32 v[228:229], v[100:101], v[92:93]
	v_mul_f64 v[92:93], v[102:103], v[92:93]
	v_fma_f64 v[230:231], v[100:101], v[94:95], -v[92:93]
	v_accvgpr_read_b32 v92, a234
	v_accvgpr_read_b32 v94, a236
	v_accvgpr_read_b32 v95, a237
	v_accvgpr_read_b32 v93, a235
	v_mul_f64 v[232:233], v[94:95], v[90:91]
	v_fmac_f64_e32 v[232:233], v[92:93], v[88:89]
	v_mul_f64 v[88:89], v[94:95], v[88:89]
	v_fma_f64 v[90:91], v[92:93], v[90:91], -v[88:89]
	v_accvgpr_read_b32 v92, a200
	v_accvgpr_read_b32 v94, a202
	v_accvgpr_read_b32 v95, a203
	v_accvgpr_read_b32 v93, a201
	v_mul_f64 v[234:235], v[94:95], v[86:87]
	v_fmac_f64_e32 v[234:235], v[92:93], v[84:85]
	v_mul_f64 v[84:85], v[94:95], v[84:85]
	v_fma_f64 v[236:237], v[92:93], v[86:87], -v[84:85]
	v_accvgpr_read_b32 v84, a196
	v_accvgpr_read_b32 v86, a198
	v_accvgpr_read_b32 v87, a199
	v_accvgpr_read_b32 v85, a197
	v_mul_f64 v[238:239], v[86:87], v[82:83]
	v_fmac_f64_e32 v[238:239], v[84:85], v[80:81]
	v_mul_f64 v[80:81], v[86:87], v[80:81]
	v_fma_f64 v[82:83], v[84:85], v[82:83], -v[80:81]
	v_accvgpr_read_b32 v84, a192
	v_accvgpr_read_b32 v86, a194
	v_accvgpr_read_b32 v87, a195
	v_accvgpr_read_b32 v85, a193
	s_waitcnt lgkmcnt(13)
	v_mul_f64 v[240:241], v[86:87], v[78:79]
	v_fmac_f64_e32 v[240:241], v[84:85], v[76:77]
	v_mul_f64 v[76:77], v[86:87], v[76:77]
	v_fma_f64 v[242:243], v[84:85], v[78:79], -v[76:77]
	v_accvgpr_read_b32 v76, a188
	v_accvgpr_read_b32 v78, a190
	v_accvgpr_read_b32 v79, a191
	v_accvgpr_read_b32 v77, a189
	s_waitcnt lgkmcnt(12)
	v_mul_f64 v[244:245], v[78:79], v[74:75]
	v_fmac_f64_e32 v[244:245], v[76:77], v[72:73]
	v_mul_f64 v[72:73], v[78:79], v[72:73]
	v_fma_f64 v[74:75], v[76:77], v[74:75], -v[72:73]
	v_accvgpr_read_b32 v76, a184
	v_accvgpr_read_b32 v78, a186
	v_accvgpr_read_b32 v79, a187
	v_accvgpr_read_b32 v77, a185
	;; [unrolled: 9-line block ×5, first 2 shown]
	s_waitcnt lgkmcnt(6)
	v_mul_f64 v[60:61], v[64:65], v[58:59]
	v_accvgpr_read_b32 v68, a168
	v_fmac_f64_e32 v[60:61], v[62:63], v[56:57]
	v_mul_f64 v[56:57], v[64:65], v[56:57]
	v_accvgpr_read_b32 v70, a170
	v_accvgpr_read_b32 v71, a171
	v_fma_f64 v[58:59], v[62:63], v[58:59], -v[56:57]
	v_accvgpr_read_b32 v69, a169
	s_waitcnt lgkmcnt(4)
	v_mul_f64 v[62:63], v[70:71], v[54:55]
	v_fmac_f64_e32 v[62:63], v[68:69], v[52:53]
	v_mul_f64 v[52:53], v[70:71], v[52:53]
	v_fma_f64 v[52:53], v[68:69], v[54:55], -v[52:53]
	v_accvgpr_read_b32 v68, a164
	v_accvgpr_read_b32 v70, a166
	v_accvgpr_read_b32 v71, a167
	v_accvgpr_read_b32 v69, a165
	s_waitcnt lgkmcnt(3)
	v_mul_f64 v[54:55], v[70:71], v[50:51]
	v_fmac_f64_e32 v[54:55], v[68:69], v[48:49]
	v_mul_f64 v[48:49], v[70:71], v[48:49]
	v_fma_f64 v[50:51], v[68:69], v[50:51], -v[48:49]
	v_accvgpr_read_b32 v68, a160
	v_accvgpr_read_b32 v70, a162
	v_accvgpr_read_b32 v71, a163
	v_accvgpr_read_b32 v69, a161
	s_waitcnt lgkmcnt(1)
	v_mul_f64 v[48:49], v[70:71], v[46:47]
	v_fmac_f64_e32 v[48:49], v[68:69], v[44:45]
	v_mul_f64 v[44:45], v[70:71], v[44:45]
	v_fma_f64 v[44:45], v[68:69], v[46:47], -v[44:45]
	v_accvgpr_read_b32 v68, a156
	v_accvgpr_read_b32 v70, a158
	v_accvgpr_read_b32 v71, a159
	v_accvgpr_read_b32 v69, a157
	s_waitcnt lgkmcnt(0)
	v_mul_f64 v[46:47], v[70:71], v[42:43]
	v_fmac_f64_e32 v[46:47], v[68:69], v[40:41]
	v_mul_f64 v[40:41], v[70:71], v[40:41]
	v_fma_f64 v[42:43], v[68:69], v[42:43], -v[40:41]
	v_add_f64 v[40:41], v[36:37], v[120:121]
	v_add_f64 v[116:117], v[40:41], v[124:125]
	v_add_f64 v[40:41], v[120:121], v[124:125]
	v_fmac_f64_e32 v[36:37], -0.5, v[40:41]
	v_add_f64 v[40:41], v[122:123], -v[112:113]
	v_fma_f64 v[108:109], s[4:5], v[40:41], v[36:37]
	v_fmac_f64_e32 v[36:37], s[2:3], v[40:41]
	v_add_f64 v[40:41], v[38:39], v[122:123]
	v_add_f64 v[118:119], v[40:41], v[112:113]
	v_add_f64 v[40:41], v[122:123], v[112:113]
	v_fmac_f64_e32 v[38:39], -0.5, v[40:41]
	v_add_f64 v[40:41], v[120:121], -v[124:125]
	v_fma_f64 v[110:111], s[2:3], v[40:41], v[38:39]
	v_fmac_f64_e32 v[38:39], s[4:5], v[40:41]
	;; [unrolled: 7-line block ×20, first 2 shown]
	s_barrier
	scratch_load_dword v44, off, off offset:196 ; 4-byte Folded Reload
	s_waitcnt vmcnt(0)
	ds_write_b128 v44, v[116:119]
	ds_write_b128 v44, v[108:111] offset:800
	ds_write_b128 v44, v[36:39] offset:1600
	scratch_load_dword v36, off, off offset:216 ; 4-byte Folded Reload
	s_waitcnt vmcnt(0)
	ds_write_b128 v36, v[112:115]
	ds_write_b128 v36, v[104:107] offset:800
	ds_write_b128 v36, v[32:35] offset:1600
	;; [unrolled: 5-line block ×9, first 2 shown]
	scratch_load_dword v4, off, off offset:248 ; 4-byte Folded Reload
	v_accvgpr_read_b32 v122, a152
	v_accvgpr_read_b32 v124, a154
	;; [unrolled: 1-line block ×3, first 2 shown]
	s_waitcnt vmcnt(0)
	ds_write_b128 v4, v[50:53]
	ds_write_b128 v4, v[40:43] offset:800
	ds_write_b128 v4, v[0:3] offset:1600
	s_waitcnt lgkmcnt(0)
	s_barrier
	ds_read_b128 v[36:39], v220
	ds_read_b128 v[116:119], v220 offset:21600
	ds_read_b128 v[112:115], v220 offset:43200
	;; [unrolled: 1-line block ×29, first 2 shown]
	v_accvgpr_read_b32 v123, a153
	s_waitcnt lgkmcnt(14)
	v_mul_f64 v[120:121], v[124:125], v[118:119]
	v_fmac_f64_e32 v[120:121], v[122:123], v[116:117]
	v_mul_f64 v[116:117], v[124:125], v[116:117]
	v_fma_f64 v[122:123], v[122:123], v[118:119], -v[116:117]
	v_accvgpr_read_b32 v116, a148
	v_accvgpr_read_b32 v118, a150
	v_accvgpr_read_b32 v119, a151
	v_accvgpr_read_b32 v117, a149
	v_mul_f64 v[124:125], v[118:119], v[114:115]
	v_fmac_f64_e32 v[124:125], v[116:117], v[112:113]
	v_mul_f64 v[112:113], v[118:119], v[112:113]
	v_fma_f64 v[112:113], v[116:117], v[114:115], -v[112:113]
	v_accvgpr_read_b32 v114, a144
	v_accvgpr_read_b32 v116, a146
	v_accvgpr_read_b32 v117, a147
	v_accvgpr_read_b32 v115, a145
	;; [unrolled: 8-line block ×10, first 2 shown]
	s_waitcnt lgkmcnt(13)
	v_mul_f64 v[240:241], v[86:87], v[78:79]
	v_fmac_f64_e32 v[240:241], v[84:85], v[76:77]
	v_mul_f64 v[76:77], v[86:87], v[76:77]
	v_fma_f64 v[242:243], v[84:85], v[78:79], -v[76:77]
	v_accvgpr_read_b32 v76, a108
	v_accvgpr_read_b32 v78, a110
	v_accvgpr_read_b32 v79, a111
	v_accvgpr_read_b32 v77, a109
	s_waitcnt lgkmcnt(12)
	v_mul_f64 v[244:245], v[78:79], v[74:75]
	v_fmac_f64_e32 v[244:245], v[76:77], v[72:73]
	v_mul_f64 v[72:73], v[78:79], v[72:73]
	v_fma_f64 v[74:75], v[76:77], v[74:75], -v[72:73]
	v_accvgpr_read_b32 v76, a104
	v_accvgpr_read_b32 v78, a106
	v_accvgpr_read_b32 v79, a107
	v_accvgpr_read_b32 v77, a105
	;; [unrolled: 9-line block ×5, first 2 shown]
	s_waitcnt lgkmcnt(6)
	v_mul_f64 v[60:61], v[64:65], v[58:59]
	v_accvgpr_read_b32 v68, a88
	v_fmac_f64_e32 v[60:61], v[62:63], v[56:57]
	v_mul_f64 v[56:57], v[64:65], v[56:57]
	v_accvgpr_read_b32 v70, a90
	v_accvgpr_read_b32 v71, a91
	v_fma_f64 v[58:59], v[62:63], v[58:59], -v[56:57]
	v_accvgpr_read_b32 v69, a89
	s_waitcnt lgkmcnt(4)
	v_mul_f64 v[62:63], v[70:71], v[54:55]
	v_fmac_f64_e32 v[62:63], v[68:69], v[52:53]
	v_mul_f64 v[52:53], v[70:71], v[52:53]
	v_fma_f64 v[52:53], v[68:69], v[54:55], -v[52:53]
	v_accvgpr_read_b32 v68, a84
	v_accvgpr_read_b32 v70, a86
	v_accvgpr_read_b32 v71, a87
	v_accvgpr_read_b32 v69, a85
	s_waitcnt lgkmcnt(3)
	v_mul_f64 v[54:55], v[70:71], v[50:51]
	v_fmac_f64_e32 v[54:55], v[68:69], v[48:49]
	v_mul_f64 v[48:49], v[70:71], v[48:49]
	v_fma_f64 v[50:51], v[68:69], v[50:51], -v[48:49]
	v_accvgpr_read_b32 v68, a80
	v_accvgpr_read_b32 v70, a82
	v_accvgpr_read_b32 v71, a83
	;; [unrolled: 9-line block ×3, first 2 shown]
	v_accvgpr_read_b32 v69, a77
	s_waitcnt lgkmcnt(0)
	v_mul_f64 v[46:47], v[70:71], v[42:43]
	v_fmac_f64_e32 v[46:47], v[68:69], v[40:41]
	v_mul_f64 v[40:41], v[70:71], v[40:41]
	v_fma_f64 v[42:43], v[68:69], v[42:43], -v[40:41]
	v_add_f64 v[40:41], v[36:37], v[120:121]
	v_add_f64 v[116:117], v[40:41], v[124:125]
	;; [unrolled: 1-line block ×3, first 2 shown]
	v_fmac_f64_e32 v[36:37], -0.5, v[40:41]
	v_add_f64 v[40:41], v[122:123], -v[112:113]
	v_fma_f64 v[108:109], s[4:5], v[40:41], v[36:37]
	v_fmac_f64_e32 v[36:37], s[2:3], v[40:41]
	v_add_f64 v[40:41], v[38:39], v[122:123]
	v_add_f64 v[118:119], v[40:41], v[112:113]
	;; [unrolled: 1-line block ×3, first 2 shown]
	v_fmac_f64_e32 v[38:39], -0.5, v[40:41]
	v_add_f64 v[40:41], v[120:121], -v[124:125]
	v_fma_f64 v[110:111], s[2:3], v[40:41], v[38:39]
	v_fmac_f64_e32 v[38:39], s[4:5], v[40:41]
	s_barrier
	ds_write_b128 v220, v[116:119]
	ds_write_b128 v220, v[108:111] offset:2400
	ds_write_b128 v220, v[36:39] offset:4800
	scratch_load_dword v36, off, off offset:572 ; 4-byte Folded Reload
	v_add_f64 v[40:41], v[32:33], v[126:127]
	v_add_f64 v[112:113], v[40:41], v[130:131]
	v_add_f64 v[40:41], v[126:127], v[130:131]
	v_fmac_f64_e32 v[32:33], -0.5, v[40:41]
	v_add_f64 v[40:41], v[128:129], -v[106:107]
	v_fma_f64 v[104:105], s[4:5], v[40:41], v[32:33]
	v_fmac_f64_e32 v[32:33], s[2:3], v[40:41]
	v_add_f64 v[40:41], v[34:35], v[128:129]
	v_add_f64 v[114:115], v[40:41], v[106:107]
	v_add_f64 v[40:41], v[128:129], v[106:107]
	v_fmac_f64_e32 v[34:35], -0.5, v[40:41]
	v_add_f64 v[40:41], v[126:127], -v[130:131]
	v_fma_f64 v[106:107], s[2:3], v[40:41], v[34:35]
	v_fmac_f64_e32 v[34:35], s[4:5], v[40:41]
	s_waitcnt vmcnt(0)
	ds_write_b128 v36, v[112:115]
	ds_write_b128 v36, v[104:107] offset:2400
	ds_write_b128 v36, v[32:35] offset:4800
	scratch_load_dword v32, off, off offset:576 ; 4-byte Folded Reload
	v_add_f64 v[40:41], v[28:29], v[218:219]
	v_add_f64 v[100:101], v[40:41], v[226:227]
	v_add_f64 v[40:41], v[218:219], v[226:227]
	v_fmac_f64_e32 v[28:29], -0.5, v[40:41]
	v_add_f64 v[40:41], v[222:223], -v[98:99]
	v_fma_f64 v[96:97], s[4:5], v[40:41], v[28:29]
	v_fmac_f64_e32 v[28:29], s[2:3], v[40:41]
	v_add_f64 v[40:41], v[30:31], v[222:223]
	v_add_f64 v[102:103], v[40:41], v[98:99]
	v_add_f64 v[40:41], v[222:223], v[98:99]
	v_fmac_f64_e32 v[30:31], -0.5, v[40:41]
	v_add_f64 v[40:41], v[218:219], -v[226:227]
	v_fma_f64 v[98:99], s[2:3], v[40:41], v[30:31]
	v_fmac_f64_e32 v[30:31], s[4:5], v[40:41]
	s_waitcnt vmcnt(0)
	;; [unrolled: 19-line block ×8, first 2 shown]
	ds_write_b128 v8, v[124:127]
	ds_write_b128 v8, v[60:63] offset:2400
	ds_write_b128 v8, v[4:7] offset:4800
	scratch_load_dword v4, off, off offset:604 ; 4-byte Folded Reload
	v_add_f64 v[40:41], v[0:1], v[48:49]
	v_add_f64 v[50:51], v[40:41], v[46:47]
	;; [unrolled: 1-line block ×3, first 2 shown]
	v_fmac_f64_e32 v[0:1], -0.5, v[40:41]
	v_add_f64 v[52:53], v[44:45], -v[42:43]
	v_fma_f64 v[40:41], s[4:5], v[52:53], v[0:1]
	v_fmac_f64_e32 v[0:1], s[2:3], v[52:53]
	v_add_f64 v[52:53], v[2:3], v[44:45]
	v_add_f64 v[52:53], v[52:53], v[42:43]
	;; [unrolled: 1-line block ×3, first 2 shown]
	v_fmac_f64_e32 v[2:3], -0.5, v[42:43]
	v_add_f64 v[44:45], v[48:49], -v[46:47]
	v_accvgpr_read_b32 v125, a75
	v_fma_f64 v[42:43], s[2:3], v[44:45], v[2:3]
	v_fmac_f64_e32 v[2:3], s[4:5], v[44:45]
	v_accvgpr_read_b32 v124, a74
	s_waitcnt vmcnt(0)
	ds_write_b128 v4, v[50:53] offset:57600
	ds_write_b128 v4, v[40:43] offset:60000
	;; [unrolled: 1-line block ×3, first 2 shown]
	s_waitcnt lgkmcnt(0)
	s_barrier
	ds_read_b128 v[36:39], v220
	ds_read_b128 v[116:119], v220 offset:21600
	ds_read_b128 v[112:115], v220 offset:43200
	;; [unrolled: 1-line block ×29, first 2 shown]
	v_accvgpr_read_b32 v123, a73
	v_accvgpr_read_b32 v122, a72
	s_waitcnt lgkmcnt(14)
	v_mul_f64 v[120:121], v[124:125], v[118:119]
	v_fmac_f64_e32 v[120:121], v[122:123], v[116:117]
	v_mul_f64 v[116:117], v[124:125], v[116:117]
	v_fma_f64 v[122:123], v[122:123], v[118:119], -v[116:117]
	v_accvgpr_read_b32 v119, a71
	v_accvgpr_read_b32 v118, a70
	v_accvgpr_read_b32 v117, a69
	v_accvgpr_read_b32 v116, a68
	v_mul_f64 v[124:125], v[118:119], v[114:115]
	v_fmac_f64_e32 v[124:125], v[116:117], v[112:113]
	v_mul_f64 v[112:113], v[118:119], v[112:113]
	v_fma_f64 v[112:113], v[116:117], v[114:115], -v[112:113]
	v_accvgpr_read_b32 v117, a67
	v_accvgpr_read_b32 v116, a66
	v_accvgpr_read_b32 v115, a65
	v_accvgpr_read_b32 v114, a64
	;; [unrolled: 8-line block ×10, first 2 shown]
	s_waitcnt lgkmcnt(13)
	v_mul_f64 v[240:241], v[86:87], v[78:79]
	v_fmac_f64_e32 v[240:241], v[84:85], v[76:77]
	v_mul_f64 v[76:77], v[86:87], v[76:77]
	v_fma_f64 v[242:243], v[84:85], v[78:79], -v[76:77]
	v_accvgpr_read_b32 v79, a31
	v_accvgpr_read_b32 v78, a30
	v_accvgpr_read_b32 v77, a29
	v_accvgpr_read_b32 v76, a28
	s_waitcnt lgkmcnt(12)
	v_mul_f64 v[244:245], v[78:79], v[74:75]
	v_fmac_f64_e32 v[244:245], v[76:77], v[72:73]
	v_mul_f64 v[72:73], v[78:79], v[72:73]
	v_fma_f64 v[74:75], v[76:77], v[74:75], -v[72:73]
	v_accvgpr_read_b32 v79, a27
	v_accvgpr_read_b32 v78, a26
	v_accvgpr_read_b32 v77, a25
	v_accvgpr_read_b32 v76, a24
	;; [unrolled: 9-line block ×5, first 2 shown]
	s_waitcnt lgkmcnt(6)
	v_mul_f64 v[60:61], v[64:65], v[58:59]
	v_accvgpr_read_b32 v71, a11
	v_fmac_f64_e32 v[60:61], v[62:63], v[56:57]
	v_mul_f64 v[56:57], v[64:65], v[56:57]
	v_accvgpr_read_b32 v70, a10
	v_fma_f64 v[58:59], v[62:63], v[58:59], -v[56:57]
	v_accvgpr_read_b32 v69, a9
	v_accvgpr_read_b32 v68, a8
	s_waitcnt lgkmcnt(4)
	v_mul_f64 v[62:63], v[70:71], v[54:55]
	v_fmac_f64_e32 v[62:63], v[68:69], v[52:53]
	v_mul_f64 v[52:53], v[70:71], v[52:53]
	v_fma_f64 v[52:53], v[68:69], v[54:55], -v[52:53]
	v_accvgpr_read_b32 v71, a7
	v_accvgpr_read_b32 v70, a6
	;; [unrolled: 1-line block ×4, first 2 shown]
	s_waitcnt lgkmcnt(3)
	v_mul_f64 v[54:55], v[70:71], v[50:51]
	v_fmac_f64_e32 v[54:55], v[68:69], v[48:49]
	v_mul_f64 v[48:49], v[70:71], v[48:49]
	v_fma_f64 v[50:51], v[68:69], v[50:51], -v[48:49]
	s_waitcnt lgkmcnt(1)
	v_mul_f64 v[48:49], v[216:217], v[46:47]
	v_fmac_f64_e32 v[48:49], v[214:215], v[44:45]
	v_mul_f64 v[44:45], v[216:217], v[44:45]
	v_fma_f64 v[214:215], v[214:215], v[46:47], -v[44:45]
	v_accvgpr_read_b32 v47, a3
	v_accvgpr_read_b32 v46, a2
	;; [unrolled: 1-line block ×4, first 2 shown]
	s_waitcnt lgkmcnt(0)
	v_mul_f64 v[216:217], v[46:47], v[42:43]
	v_fmac_f64_e32 v[216:217], v[44:45], v[40:41]
	v_mul_f64 v[40:41], v[46:47], v[40:41]
	v_fma_f64 v[42:43], v[44:45], v[42:43], -v[40:41]
	v_add_f64 v[40:41], v[36:37], v[120:121]
	v_add_f64 v[116:117], v[40:41], v[124:125]
	v_add_f64 v[40:41], v[120:121], v[124:125]
	v_fmac_f64_e32 v[36:37], -0.5, v[40:41]
	v_add_f64 v[40:41], v[122:123], -v[112:113]
	v_fma_f64 v[108:109], s[4:5], v[40:41], v[36:37]
	v_fmac_f64_e32 v[36:37], s[2:3], v[40:41]
	v_add_f64 v[40:41], v[38:39], v[122:123]
	v_add_f64 v[118:119], v[40:41], v[112:113]
	v_add_f64 v[40:41], v[122:123], v[112:113]
	v_fmac_f64_e32 v[38:39], -0.5, v[40:41]
	v_add_f64 v[40:41], v[120:121], -v[124:125]
	v_fma_f64 v[110:111], s[2:3], v[40:41], v[38:39]
	v_fmac_f64_e32 v[38:39], s[4:5], v[40:41]
	;; [unrolled: 7-line block ×19, first 2 shown]
	v_add_f64 v[46:47], v[2:3], v[214:215]
	s_barrier
	ds_write_b128 v220, v[116:119]
	ds_write_b128 v220, v[108:111] offset:7200
	ds_write_b128 v220, v[36:39] offset:14400
	;; [unrolled: 1-line block ×8, first 2 shown]
	v_accvgpr_read_b32 v28, a228
	v_add_f64 v[46:47], v[46:47], v[42:43]
	v_add_f64 v[42:43], v[214:215], v[42:43]
	ds_write_b128 v28, v[92:95]
	ds_write_b128 v28, v[88:91] offset:7200
	ds_write_b128 v28, v[24:27] offset:14400
	;; [unrolled: 1-line block ×8, first 2 shown]
	v_accvgpr_read_b32 v16, a255
	v_fmac_f64_e32 v[2:3], -0.5, v[42:43]
	v_add_f64 v[48:49], v[48:49], -v[216:217]
	ds_write_b128 v16, v[68:71]
	ds_write_b128 v16, v[64:67] offset:7200
	ds_write_b128 v16, v[12:15] offset:14400
	v_accvgpr_read_b32 v12, a254
	v_fma_f64 v[42:43], s[2:3], v[48:49], v[2:3]
	v_fmac_f64_e32 v[2:3], s[4:5], v[48:49]
	ds_write_b128 v12, v[120:123] offset:43200
	ds_write_b128 v12, v[56:59] offset:50400
	;; [unrolled: 1-line block ×3, first 2 shown]
	v_accvgpr_read_b32 v8, a229
	ds_write_b128 v8, v[124:127] offset:43200
	ds_write_b128 v8, v[60:63] offset:50400
	;; [unrolled: 1-line block ×6, first 2 shown]
	s_waitcnt lgkmcnt(0)
	s_barrier
	ds_read_b128 v[20:23], v220
	ds_read_b128 v[88:91], v220 offset:21600
	ds_read_b128 v[76:79], v220 offset:43200
	;; [unrolled: 1-line block ×29, first 2 shown]
	s_waitcnt lgkmcnt(14)
	v_mul_f64 v[126:127], v[208:209], v[90:91]
	v_fmac_f64_e32 v[126:127], v[206:207], v[88:89]
	v_mul_f64 v[88:89], v[208:209], v[88:89]
	v_fma_f64 v[88:89], v[206:207], v[90:91], -v[88:89]
	v_mul_f64 v[90:91], v[212:213], v[78:79]
	v_fmac_f64_e32 v[90:91], v[210:211], v[76:77]
	v_mul_f64 v[76:77], v[212:213], v[76:77]
	v_fma_f64 v[76:77], v[210:211], v[78:79], -v[76:77]
	;; [unrolled: 4-line block ×3, first 2 shown]
	v_mul_f64 v[108:109], v[204:205], v[112:113]
	v_fma_f64 v[198:199], v[202:203], v[114:115], -v[108:109]
	v_mul_f64 v[200:201], v[192:193], v[118:119]
	v_mul_f64 v[108:109], v[192:193], v[116:117]
	;; [unrolled: 1-line block ×3, first 2 shown]
	v_fmac_f64_e32 v[192:193], v[194:195], v[104:105]
	v_mul_f64 v[104:105], v[196:197], v[104:105]
	v_mul_f64 v[196:197], v[184:185], v[102:103]
	v_fmac_f64_e32 v[196:197], v[182:183], v[100:101]
	v_mul_f64 v[100:101], v[184:185], v[100:101]
	s_waitcnt lgkmcnt(0)
	v_mul_f64 v[122:123], v[140:141], v[42:43]
	v_fma_f64 v[100:101], v[182:183], v[102:103], -v[100:101]
	v_mul_f64 v[102:103], v[152:153], v[62:63]
	v_fmac_f64_e32 v[122:123], v[138:139], v[40:41]
	v_mul_f64 v[40:41], v[140:141], v[40:41]
	v_fmac_f64_e32 v[102:103], v[150:151], v[60:61]
	v_mul_f64 v[60:61], v[152:153], v[60:61]
	v_fma_f64 v[124:125], v[138:139], v[42:43], -v[40:41]
	v_add_f64 v[40:41], v[20:21], v[126:127]
	v_fmac_f64_e32 v[200:201], v[190:191], v[116:117]
	v_fma_f64 v[194:195], v[194:195], v[106:107], -v[104:105]
	v_fma_f64 v[104:105], v[150:151], v[62:63], -v[60:61]
	v_mul_f64 v[116:117], v[148:149], v[50:51]
	v_add_f64 v[60:61], v[40:41], v[90:91]
	v_add_f64 v[40:41], v[126:127], v[90:91]
	v_mul_f64 v[182:183], v[188:189], v[98:99]
	v_fmac_f64_e32 v[116:117], v[146:147], v[48:49]
	v_mul_f64 v[48:49], v[148:149], v[48:49]
	v_fmac_f64_e32 v[20:21], -0.5, v[40:41]
	v_add_f64 v[40:41], v[88:89], -v[76:77]
	v_mul_f64 v[130:131], v[204:205], v[114:115]
	v_fma_f64 v[190:191], v[190:191], v[118:119], -v[108:109]
	v_fmac_f64_e32 v[182:183], v[186:187], v[96:97]
	v_mul_f64 v[96:97], v[188:189], v[96:97]
	v_fma_f64 v[118:119], v[146:147], v[50:51], -v[48:49]
	v_fma_f64 v[48:49], s[4:5], v[40:41], v[20:21]
	v_fmac_f64_e32 v[20:21], s[2:3], v[40:41]
	v_add_f64 v[40:41], v[22:23], v[88:89]
	v_fmac_f64_e32 v[130:131], v[202:203], v[112:113]
	v_fma_f64 v[184:185], v[186:187], v[98:99], -v[96:97]
	v_mul_f64 v[186:187], v[176:177], v[94:95]
	v_mul_f64 v[114:115], v[136:137], v[46:47]
	v_add_f64 v[62:63], v[40:41], v[76:77]
	v_add_f64 v[40:41], v[88:89], v[76:77]
	v_fmac_f64_e32 v[186:187], v[174:175], v[92:93]
	v_mul_f64 v[92:93], v[176:177], v[92:93]
	v_mul_f64 v[106:107], v[144:145], v[54:55]
	v_fmac_f64_e32 v[114:115], v[134:135], v[44:45]
	v_mul_f64 v[44:45], v[136:137], v[44:45]
	v_fmac_f64_e32 v[22:23], -0.5, v[40:41]
	v_add_f64 v[40:41], v[126:127], -v[90:91]
	v_add_f64 v[42:43], v[78:79], v[130:131]
	v_fma_f64 v[92:93], v[174:175], v[94:95], -v[92:93]
	v_mul_f64 v[174:175], v[180:181], v[86:87]
	v_mul_f64 v[108:109], v[156:157], v[58:59]
	v_fmac_f64_e32 v[106:107], v[142:143], v[52:53]
	v_mul_f64 v[52:53], v[144:145], v[52:53]
	v_fma_f64 v[120:121], v[134:135], v[46:47], -v[44:45]
	v_fma_f64 v[50:51], s[2:3], v[40:41], v[22:23]
	v_fmac_f64_e32 v[22:23], s[4:5], v[40:41]
	v_add_f64 v[40:41], v[28:29], v[78:79]
	v_fmac_f64_e32 v[28:29], -0.5, v[42:43]
	v_add_f64 v[42:43], v[128:129], -v[198:199]
	v_add_f64 v[46:47], v[128:129], v[198:199]
	v_fmac_f64_e32 v[174:175], v[178:179], v[84:85]
	v_mul_f64 v[84:85], v[180:181], v[84:85]
	v_mul_f64 v[94:95], v[160:161], v[70:71]
	;; [unrolled: 1-line block ×3, first 2 shown]
	v_fmac_f64_e32 v[108:109], v[154:155], v[56:57]
	v_mul_f64 v[56:57], v[156:157], v[56:57]
	v_fma_f64 v[112:113], v[142:143], v[54:55], -v[52:53]
	v_fma_f64 v[44:45], s[4:5], v[42:43], v[28:29]
	v_fmac_f64_e32 v[28:29], s[2:3], v[42:43]
	v_add_f64 v[42:43], v[30:31], v[128:129]
	v_fmac_f64_e32 v[30:31], -0.5, v[46:47]
	v_add_f64 v[52:53], v[78:79], -v[130:131]
	v_add_f64 v[54:55], v[200:201], v[192:193]
	v_fma_f64 v[84:85], v[178:179], v[86:87], -v[84:85]
	v_mul_f64 v[86:87], v[168:169], v[82:83]
	v_fmac_f64_e32 v[94:95], v[158:159], v[68:69]
	v_mul_f64 v[68:69], v[160:161], v[68:69]
	v_fmac_f64_e32 v[98:99], v[162:163], v[64:65]
	v_mul_f64 v[64:65], v[164:165], v[64:65]
	v_fma_f64 v[110:111], v[154:155], v[58:59], -v[56:57]
	v_fma_f64 v[46:47], s[2:3], v[52:53], v[30:31]
	v_fmac_f64_e32 v[30:31], s[4:5], v[52:53]
	v_add_f64 v[52:53], v[36:37], v[200:201]
	v_fmac_f64_e32 v[36:37], -0.5, v[54:55]
	v_add_f64 v[54:55], v[190:191], -v[194:195]
	v_add_f64 v[58:59], v[190:191], v[194:195]
	v_fmac_f64_e32 v[86:87], v[166:167], v[80:81]
	v_mul_f64 v[80:81], v[168:169], v[80:81]
	v_mul_f64 v[168:169], v[172:173], v[74:75]
	v_fma_f64 v[96:97], v[158:159], v[70:71], -v[68:69]
	v_fma_f64 v[158:159], v[162:163], v[66:67], -v[64:65]
	v_fma_f64 v[56:57], s[4:5], v[54:55], v[36:37]
	v_fmac_f64_e32 v[36:37], s[2:3], v[54:55]
	v_add_f64 v[54:55], v[38:39], v[190:191]
	v_fmac_f64_e32 v[38:39], -0.5, v[58:59]
	v_add_f64 v[64:65], v[200:201], -v[192:193]
	v_add_f64 v[66:67], v[196:197], v[182:183]
	v_fmac_f64_e32 v[168:169], v[170:171], v[72:73]
	v_mul_f64 v[72:73], v[172:173], v[72:73]
	v_fma_f64 v[58:59], s[2:3], v[64:65], v[38:39]
	v_fmac_f64_e32 v[38:39], s[4:5], v[64:65]
	v_add_f64 v[64:65], v[32:33], v[196:197]
	v_fmac_f64_e32 v[32:33], -0.5, v[66:67]
	v_add_f64 v[66:67], v[100:101], -v[184:185]
	v_add_f64 v[70:71], v[100:101], v[184:185]
	v_fma_f64 v[170:171], v[170:171], v[74:75], -v[72:73]
	v_fma_f64 v[68:69], s[4:5], v[66:67], v[32:33]
	v_fmac_f64_e32 v[32:33], s[2:3], v[66:67]
	v_add_f64 v[66:67], v[34:35], v[100:101]
	v_fmac_f64_e32 v[34:35], -0.5, v[70:71]
	v_add_f64 v[72:73], v[196:197], -v[182:183]
	v_add_f64 v[74:75], v[186:187], v[174:175]
	v_fma_f64 v[70:71], s[2:3], v[72:73], v[34:35]
	v_fmac_f64_e32 v[34:35], s[4:5], v[72:73]
	v_add_f64 v[72:73], v[24:25], v[186:187]
	v_fmac_f64_e32 v[24:25], -0.5, v[74:75]
	v_add_f64 v[74:75], v[92:93], -v[84:85]
	v_add_f64 v[78:79], v[92:93], v[84:85]
	v_fma_f64 v[166:167], v[166:167], v[82:83], -v[80:81]
	v_fma_f64 v[76:77], s[4:5], v[74:75], v[24:25]
	v_fmac_f64_e32 v[24:25], s[2:3], v[74:75]
	v_add_f64 v[74:75], v[26:27], v[92:93]
	v_fmac_f64_e32 v[26:27], -0.5, v[78:79]
	v_add_f64 v[80:81], v[186:187], -v[174:175]
	v_add_f64 v[82:83], v[86:87], v[168:169]
	v_fma_f64 v[78:79], s[2:3], v[80:81], v[26:27]
	v_fmac_f64_e32 v[26:27], s[4:5], v[80:81]
	v_add_f64 v[80:81], v[16:17], v[86:87]
	v_fmac_f64_e32 v[16:17], -0.5, v[82:83]
	v_add_f64 v[82:83], v[166:167], -v[170:171]
	v_add_f64 v[88:89], v[166:167], v[170:171]
	v_add_f64 v[74:75], v[74:75], v[84:85]
	v_fma_f64 v[84:85], s[4:5], v[82:83], v[16:17]
	v_fmac_f64_e32 v[16:17], s[2:3], v[82:83]
	v_add_f64 v[82:83], v[18:19], v[166:167]
	v_fmac_f64_e32 v[18:19], -0.5, v[88:89]
	v_add_f64 v[88:89], v[86:87], -v[168:169]
	v_add_f64 v[90:91], v[94:95], v[98:99]
	v_fma_f64 v[86:87], s[2:3], v[88:89], v[18:19]
	v_fmac_f64_e32 v[18:19], s[4:5], v[88:89]
	v_add_f64 v[88:89], v[12:13], v[94:95]
	v_fmac_f64_e32 v[12:13], -0.5, v[90:91]
	v_add_f64 v[90:91], v[96:97], -v[158:159]
	v_fma_f64 v[92:93], s[4:5], v[90:91], v[12:13]
	v_fmac_f64_e32 v[12:13], s[2:3], v[90:91]
	v_add_f64 v[90:91], v[14:15], v[96:97]
	v_add_f64 v[96:97], v[96:97], v[158:159]
	;; [unrolled: 1-line block ×3, first 2 shown]
	v_fmac_f64_e32 v[14:15], -0.5, v[96:97]
	v_add_f64 v[96:97], v[94:95], -v[98:99]
	v_add_f64 v[98:99], v[102:103], v[108:109]
	v_fma_f64 v[94:95], s[2:3], v[96:97], v[14:15]
	v_fmac_f64_e32 v[14:15], s[4:5], v[96:97]
	v_add_f64 v[96:97], v[8:9], v[102:103]
	v_fmac_f64_e32 v[8:9], -0.5, v[98:99]
	v_add_f64 v[98:99], v[104:105], -v[110:111]
	v_fma_f64 v[100:101], s[4:5], v[98:99], v[8:9]
	v_fmac_f64_e32 v[8:9], s[2:3], v[98:99]
	v_add_f64 v[98:99], v[10:11], v[104:105]
	v_add_f64 v[104:105], v[104:105], v[110:111]
	v_fmac_f64_e32 v[10:11], -0.5, v[104:105]
	v_add_f64 v[104:105], v[102:103], -v[108:109]
	v_fma_f64 v[102:103], s[2:3], v[104:105], v[10:11]
	v_fmac_f64_e32 v[10:11], s[4:5], v[104:105]
	v_add_f64 v[104:105], v[4:5], v[106:107]
	v_add_f64 v[96:97], v[96:97], v[108:109]
	v_add_f64 v[108:109], v[104:105], v[116:117]
	v_add_f64 v[104:105], v[106:107], v[116:117]
	v_add_f64 v[98:99], v[98:99], v[110:111]
	v_fmac_f64_e32 v[4:5], -0.5, v[104:105]
	v_add_f64 v[110:111], v[112:113], -v[118:119]
	v_fma_f64 v[104:105], s[4:5], v[110:111], v[4:5]
	v_fmac_f64_e32 v[4:5], s[2:3], v[110:111]
	v_add_f64 v[110:111], v[6:7], v[112:113]
	v_add_f64 v[112:113], v[112:113], v[118:119]
	v_fmac_f64_e32 v[6:7], -0.5, v[112:113]
	v_add_f64 v[112:113], v[106:107], -v[116:117]
	v_fma_f64 v[106:107], s[2:3], v[112:113], v[6:7]
	v_fmac_f64_e32 v[6:7], s[4:5], v[112:113]
	v_add_f64 v[112:113], v[0:1], v[114:115]
	v_add_f64 v[116:117], v[112:113], v[122:123]
	;; [unrolled: 1-line block ×4, first 2 shown]
	v_fmac_f64_e32 v[0:1], -0.5, v[112:113]
	v_add_f64 v[118:119], v[120:121], -v[124:125]
	v_fma_f64 v[112:113], s[4:5], v[118:119], v[0:1]
	v_fmac_f64_e32 v[0:1], s[2:3], v[118:119]
	v_add_f64 v[118:119], v[2:3], v[120:121]
	v_add_f64 v[120:121], v[120:121], v[124:125]
	v_fmac_f64_e32 v[2:3], -0.5, v[120:121]
	v_add_f64 v[120:121], v[114:115], -v[122:123]
	v_add_f64 v[40:41], v[40:41], v[130:131]
	v_add_f64 v[42:43], v[42:43], v[198:199]
	;; [unrolled: 1-line block ×11, first 2 shown]
	v_fma_f64 v[114:115], s[2:3], v[120:121], v[2:3]
	v_fmac_f64_e32 v[2:3], s[4:5], v[120:121]
	ds_write_b128 v220, v[60:63]
	ds_write_b128 v220, v[48:51] offset:21600
	ds_write_b128 v220, v[20:23] offset:43200
	;; [unrolled: 1-line block ×29, first 2 shown]
	s_waitcnt lgkmcnt(0)
	s_barrier
	scratch_load_dwordx4 v[6:9], off, off offset:20 ; 16-byte Folded Reload
	ds_read_b128 v[0:3], v220
	s_mov_b32 s2, 0xc0898b71
	s_mov_b32 s3, 0x3f302e85
	s_waitcnt vmcnt(0) lgkmcnt(0)
	v_mul_f64 v[4:5], v[8:9], v[2:3]
	v_fmac_f64_e32 v[4:5], v[6:7], v[0:1]
	v_mul_f64 v[0:1], v[8:9], v[0:1]
	v_fma_f64 v[0:1], v[6:7], v[2:3], -v[0:1]
	v_mul_f64 v[6:7], v[0:1], s[2:3]
	v_mad_u64_u32 v[0:1], s[4:5], s0, v224, 0
	v_mov_b32_e32 v2, v1
	v_mad_u64_u32 v[2:3], s[4:5], s1, v224, v[2:3]
	v_mov_b32_e32 v1, v2
	scratch_load_dwordx2 v[2:3], off, off offset:848 ; 8-byte Folded Reload
	scratch_load_dwordx2 v[8:9], off, off offset:904 ; 8-byte Folded Reload
	scratch_load_dwordx4 v[10:13], off, off offset:68 ; 16-byte Folded Reload
	scratch_load_dwordx4 v[14:17], off, off offset:116 ; 16-byte Folded Reload
	v_mul_f64 v[4:5], v[4:5], s[2:3]
	s_waitcnt vmcnt(2)
	v_lshl_add_u64 v[2:3], v[8:9], 4, v[2:3]
	v_lshl_add_u64 v[8:9], v[0:1], 4, v[2:3]
	ds_read_b128 v[0:3], v220 offset:6480
	global_store_dwordx4 v[8:9], v[4:7], off
	v_mad_u64_u32 v[8:9], s[4:5], s0, v132, v[8:9]
	s_mul_i32 s4, s1, 0x1950
	s_waitcnt vmcnt(2) lgkmcnt(0)
	v_mul_f64 v[4:5], v[12:13], v[2:3]
	v_fmac_f64_e32 v[4:5], v[10:11], v[0:1]
	v_mul_f64 v[0:1], v[12:13], v[0:1]
	v_fma_f64 v[0:1], v[10:11], v[2:3], -v[0:1]
	scratch_load_dwordx4 v[10:13], off, off offset:132 ; 16-byte Folded Reload
	v_mul_f64 v[6:7], v[0:1], s[2:3]
	ds_read_b128 v[0:3], v220 offset:12960
	v_mul_f64 v[4:5], v[4:5], s[2:3]
	v_add_u32_e32 v9, s4, v9
	global_store_dwordx4 v[8:9], v[4:7], off
	v_mad_u64_u32 v[8:9], s[6:7], s0, v132, v[8:9]
	v_add_u32_e32 v9, s4, v9
	s_mul_i32 s1, s1, 0xffff24a0
	s_sub_i32 s1, s1, s0
	s_waitcnt vmcnt(1) lgkmcnt(0)
	v_mul_f64 v[4:5], v[12:13], v[2:3]
	v_fmac_f64_e32 v[4:5], v[10:11], v[0:1]
	v_mul_f64 v[0:1], v[12:13], v[0:1]
	v_fma_f64 v[0:1], v[10:11], v[2:3], -v[0:1]
	scratch_load_dwordx4 v[10:13], off, off offset:364 ; 16-byte Folded Reload
	v_mul_f64 v[6:7], v[0:1], s[2:3]
	ds_read_b128 v[0:3], v220 offset:19440
	v_mul_f64 v[4:5], v[4:5], s[2:3]
	global_store_dwordx4 v[8:9], v[4:7], off
	v_mad_u64_u32 v[8:9], s[6:7], s0, v132, v[8:9]
	v_add_u32_e32 v9, s4, v9
	s_waitcnt vmcnt(1) lgkmcnt(0)
	v_mul_f64 v[4:5], v[12:13], v[2:3]
	v_fmac_f64_e32 v[4:5], v[10:11], v[0:1]
	v_mul_f64 v[0:1], v[12:13], v[0:1]
	v_fma_f64 v[0:1], v[10:11], v[2:3], -v[0:1]
	scratch_load_dwordx4 v[10:13], off, off offset:396 ; 16-byte Folded Reload
	v_mul_f64 v[6:7], v[0:1], s[2:3]
	ds_read_b128 v[0:3], v220 offset:25920
	v_mul_f64 v[4:5], v[4:5], s[2:3]
	global_store_dwordx4 v[8:9], v[4:7], off
	v_mad_u64_u32 v[8:9], s[6:7], s0, v132, v[8:9]
	v_add_u32_e32 v9, s4, v9
	;; [unrolled: 12-line block ×6, first 2 shown]
	s_waitcnt vmcnt(1) lgkmcnt(0)
	v_mul_f64 v[4:5], v[12:13], v[2:3]
	v_fmac_f64_e32 v[4:5], v[10:11], v[0:1]
	v_mul_f64 v[0:1], v[12:13], v[0:1]
	v_fma_f64 v[0:1], v[10:11], v[2:3], -v[0:1]
	scratch_load_dwordx4 v[10:13], off, off offset:524 ; 16-byte Folded Reload
	v_mul_f64 v[6:7], v[0:1], s[2:3]
	ds_read_b128 v[0:3], v220 offset:58320
	v_mul_f64 v[4:5], v[4:5], s[2:3]
	global_store_dwordx4 v[8:9], v[4:7], off
	s_waitcnt vmcnt(1) lgkmcnt(0)
	s_nop 0
	v_mul_f64 v[4:5], v[12:13], v[2:3]
	v_fmac_f64_e32 v[4:5], v[10:11], v[0:1]
	v_mul_f64 v[0:1], v[12:13], v[0:1]
	v_fma_f64 v[0:1], v[10:11], v[2:3], -v[0:1]
	v_mul_f64 v[6:7], v[0:1], s[2:3]
	v_mad_u64_u32 v[0:1], s[6:7], s0, v132, v[8:9]
	scratch_load_dwordx4 v[8:11], off, off offset:36 ; 16-byte Folded Reload
	v_mul_f64 v[4:5], v[4:5], s[2:3]
	v_add_u32_e32 v1, s4, v1
	global_store_dwordx4 v[0:1], v[4:7], off
	ds_read_b128 v[2:5], v220 offset:2160
	v_mov_b32_e32 v12, 0xffff24a0
	s_waitcnt vmcnt(1) lgkmcnt(0)
	v_mul_f64 v[6:7], v[10:11], v[4:5]
	v_fmac_f64_e32 v[6:7], v[8:9], v[2:3]
	v_mul_f64 v[2:3], v[10:11], v[2:3]
	v_fma_f64 v[2:3], v[8:9], v[4:5], -v[2:3]
	v_mad_u64_u32 v[10:11], s[6:7], s0, v12, v[0:1]
	v_mul_f64 v[6:7], v[6:7], s[2:3]
	v_mul_f64 v[8:9], v[2:3], s[2:3]
	v_add_u32_e32 v11, s1, v11
	global_store_dwordx4 v[10:11], v[6:9], off
	scratch_load_dwordx4 v[6:9], off, off offset:84 ; 16-byte Folded Reload
	ds_read_b128 v[0:3], v220 offset:8640
	s_waitcnt vmcnt(0) lgkmcnt(0)
	v_mul_f64 v[4:5], v[8:9], v[2:3]
	v_fmac_f64_e32 v[4:5], v[6:7], v[0:1]
	v_mul_f64 v[0:1], v[8:9], v[0:1]
	v_fma_f64 v[0:1], v[6:7], v[2:3], -v[0:1]
	v_mul_f64 v[6:7], v[0:1], s[2:3]
	ds_read_b128 v[0:3], v220 offset:15120
	v_mad_u64_u32 v[8:9], s[6:7], s0, v132, v[10:11]
	v_mul_f64 v[4:5], v[4:5], s[2:3]
	v_add_u32_e32 v9, s4, v9
	global_store_dwordx4 v[8:9], v[4:7], off
	v_mad_u64_u32 v[8:9], s[6:7], s0, v132, v[8:9]
	s_waitcnt lgkmcnt(0)
	v_mul_f64 v[4:5], v[16:17], v[2:3]
	v_fmac_f64_e32 v[4:5], v[14:15], v[0:1]
	v_mul_f64 v[0:1], v[16:17], v[0:1]
	v_fma_f64 v[0:1], v[14:15], v[2:3], -v[0:1]
	scratch_load_dwordx4 v[14:17], off, off offset:268 ; 16-byte Folded Reload
	v_mul_f64 v[6:7], v[0:1], s[2:3]
	ds_read_b128 v[0:3], v220 offset:21600
	v_mul_f64 v[4:5], v[4:5], s[2:3]
	v_add_u32_e32 v9, s4, v9
	global_store_dwordx4 v[8:9], v[4:7], off
	v_mad_u64_u32 v[8:9], s[6:7], s0, v132, v[8:9]
	v_add_u32_e32 v9, s4, v9
	s_waitcnt vmcnt(1) lgkmcnt(0)
	v_mul_f64 v[4:5], v[16:17], v[2:3]
	v_fmac_f64_e32 v[4:5], v[14:15], v[0:1]
	v_mul_f64 v[0:1], v[16:17], v[0:1]
	v_fma_f64 v[0:1], v[14:15], v[2:3], -v[0:1]
	scratch_load_dwordx4 v[14:17], off, off offset:252 ; 16-byte Folded Reload
	v_mul_f64 v[6:7], v[0:1], s[2:3]
	ds_read_b128 v[0:3], v220 offset:28080
	v_mul_f64 v[4:5], v[4:5], s[2:3]
	global_store_dwordx4 v[8:9], v[4:7], off
	v_mad_u64_u32 v[8:9], s[6:7], s0, v132, v[8:9]
	v_add_u32_e32 v9, s4, v9
	s_waitcnt vmcnt(1) lgkmcnt(0)
	v_mul_f64 v[4:5], v[16:17], v[2:3]
	v_fmac_f64_e32 v[4:5], v[14:15], v[0:1]
	v_mul_f64 v[0:1], v[16:17], v[0:1]
	v_fma_f64 v[0:1], v[14:15], v[2:3], -v[0:1]
	scratch_load_dwordx4 v[14:17], off, off offset:284 ; 16-byte Folded Reload
	v_mul_f64 v[6:7], v[0:1], s[2:3]
	ds_read_b128 v[0:3], v220 offset:34560
	v_mul_f64 v[4:5], v[4:5], s[2:3]
	;; [unrolled: 12-line block ×6, first 2 shown]
	global_store_dwordx4 v[8:9], v[4:7], off
	s_waitcnt vmcnt(1) lgkmcnt(0)
	s_nop 0
	v_mul_f64 v[4:5], v[16:17], v[2:3]
	v_fmac_f64_e32 v[4:5], v[14:15], v[0:1]
	v_mul_f64 v[0:1], v[16:17], v[0:1]
	v_fma_f64 v[0:1], v[14:15], v[2:3], -v[0:1]
	v_mul_f64 v[6:7], v[0:1], s[2:3]
	v_mad_u64_u32 v[0:1], s[6:7], s0, v132, v[8:9]
	scratch_load_dwordx4 v[8:11], off, off offset:180 ; 16-byte Folded Reload
	v_mul_f64 v[4:5], v[4:5], s[2:3]
	v_add_u32_e32 v1, s4, v1
	global_store_dwordx4 v[0:1], v[4:7], off
	ds_read_b128 v[2:5], v220 offset:4320
	s_waitcnt vmcnt(1) lgkmcnt(0)
	v_mul_f64 v[6:7], v[10:11], v[4:5]
	v_fmac_f64_e32 v[6:7], v[8:9], v[2:3]
	v_mul_f64 v[2:3], v[10:11], v[2:3]
	v_fma_f64 v[2:3], v[8:9], v[4:5], -v[2:3]
	v_mad_u64_u32 v[10:11], s[6:7], s0, v12, v[0:1]
	v_mul_f64 v[6:7], v[6:7], s[2:3]
	v_mul_f64 v[8:9], v[2:3], s[2:3]
	v_add_u32_e32 v11, s1, v11
	global_store_dwordx4 v[10:11], v[6:9], off
	scratch_load_dwordx4 v[6:9], off, off offset:200 ; 16-byte Folded Reload
	ds_read_b128 v[0:3], v220 offset:10800
	s_waitcnt vmcnt(0) lgkmcnt(0)
	v_mul_f64 v[4:5], v[8:9], v[2:3]
	v_fmac_f64_e32 v[4:5], v[6:7], v[0:1]
	v_mul_f64 v[0:1], v[8:9], v[0:1]
	v_mad_u64_u32 v[8:9], s[6:7], s0, v132, v[10:11]
	scratch_load_dwordx4 v[10:13], off, off offset:164 ; 16-byte Folded Reload
	v_fma_f64 v[0:1], v[6:7], v[2:3], -v[0:1]
	v_mul_f64 v[6:7], v[0:1], s[2:3]
	ds_read_b128 v[0:3], v220 offset:17280
	v_mul_f64 v[4:5], v[4:5], s[2:3]
	v_add_u32_e32 v9, s4, v9
	global_store_dwordx4 v[8:9], v[4:7], off
	v_mad_u64_u32 v[8:9], s[6:7], s0, v132, v[8:9]
	v_add_u32_e32 v9, s4, v9
	s_waitcnt vmcnt(1) lgkmcnt(0)
	v_mul_f64 v[4:5], v[12:13], v[2:3]
	v_fmac_f64_e32 v[4:5], v[10:11], v[0:1]
	v_mul_f64 v[0:1], v[12:13], v[0:1]
	v_fma_f64 v[0:1], v[10:11], v[2:3], -v[0:1]
	scratch_load_dwordx4 v[10:13], off, off offset:148 ; 16-byte Folded Reload
	v_mul_f64 v[6:7], v[0:1], s[2:3]
	ds_read_b128 v[0:3], v220 offset:23760
	v_mul_f64 v[4:5], v[4:5], s[2:3]
	global_store_dwordx4 v[8:9], v[4:7], off
	v_mad_u64_u32 v[8:9], s[6:7], s0, v132, v[8:9]
	v_add_u32_e32 v9, s4, v9
	s_waitcnt vmcnt(1) lgkmcnt(0)
	v_mul_f64 v[4:5], v[12:13], v[2:3]
	v_fmac_f64_e32 v[4:5], v[10:11], v[0:1]
	v_mul_f64 v[0:1], v[12:13], v[0:1]
	v_fma_f64 v[0:1], v[10:11], v[2:3], -v[0:1]
	scratch_load_dwordx4 v[10:13], off, off offset:100 ; 16-byte Folded Reload
	v_mul_f64 v[6:7], v[0:1], s[2:3]
	ds_read_b128 v[0:3], v220 offset:30240
	v_mul_f64 v[4:5], v[4:5], s[2:3]
	;; [unrolled: 12-line block ×6, first 2 shown]
	global_store_dwordx4 v[8:9], v[4:7], off
	s_waitcnt vmcnt(1) lgkmcnt(0)
	s_nop 0
	v_mul_f64 v[4:5], v[12:13], v[2:3]
	v_fmac_f64_e32 v[4:5], v[10:11], v[0:1]
	v_mul_f64 v[0:1], v[12:13], v[0:1]
	v_fma_f64 v[0:1], v[10:11], v[2:3], -v[0:1]
	v_mul_f64 v[6:7], v[0:1], s[2:3]
	v_mad_u64_u32 v[0:1], s[6:7], s0, v132, v[8:9]
	scratch_load_dwordx4 v[8:11], off, off offset:52 ; 16-byte Folded Reload
	v_mul_f64 v[4:5], v[4:5], s[2:3]
	v_add_u32_e32 v1, s4, v1
	global_store_dwordx4 v[0:1], v[4:7], off
	ds_read_b128 v[2:5], v220 offset:62640
	v_mad_u64_u32 v[0:1], s[0:1], s0, v132, v[0:1]
	v_add_u32_e32 v1, s4, v1
	s_waitcnt vmcnt(1) lgkmcnt(0)
	v_mul_f64 v[6:7], v[10:11], v[4:5]
	v_fmac_f64_e32 v[6:7], v[8:9], v[2:3]
	v_mul_f64 v[2:3], v[10:11], v[2:3]
	v_fma_f64 v[2:3], v[8:9], v[4:5], -v[2:3]
	v_mul_f64 v[6:7], v[6:7], s[2:3]
	v_mul_f64 v[8:9], v[2:3], s[2:3]
	global_store_dwordx4 v[0:1], v[6:9], off
.LBB0_2:
	s_endpgm
	.section	.rodata,"a",@progbits
	.p2align	6, 0x0
	.amdhsa_kernel bluestein_single_fwd_len4050_dim1_dp_op_CI_CI
		.amdhsa_group_segment_fixed_size 64800
		.amdhsa_private_segment_fixed_size 916
		.amdhsa_kernarg_size 104
		.amdhsa_user_sgpr_count 2
		.amdhsa_user_sgpr_dispatch_ptr 0
		.amdhsa_user_sgpr_queue_ptr 0
		.amdhsa_user_sgpr_kernarg_segment_ptr 1
		.amdhsa_user_sgpr_dispatch_id 0
		.amdhsa_user_sgpr_kernarg_preload_length 0
		.amdhsa_user_sgpr_kernarg_preload_offset 0
		.amdhsa_user_sgpr_private_segment_size 0
		.amdhsa_uses_dynamic_stack 0
		.amdhsa_enable_private_segment 1
		.amdhsa_system_sgpr_workgroup_id_x 1
		.amdhsa_system_sgpr_workgroup_id_y 0
		.amdhsa_system_sgpr_workgroup_id_z 0
		.amdhsa_system_sgpr_workgroup_info 0
		.amdhsa_system_vgpr_workitem_id 0
		.amdhsa_next_free_vgpr 512
		.amdhsa_next_free_sgpr 36
		.amdhsa_accum_offset 256
		.amdhsa_reserve_vcc 1
		.amdhsa_float_round_mode_32 0
		.amdhsa_float_round_mode_16_64 0
		.amdhsa_float_denorm_mode_32 3
		.amdhsa_float_denorm_mode_16_64 3
		.amdhsa_dx10_clamp 1
		.amdhsa_ieee_mode 1
		.amdhsa_fp16_overflow 0
		.amdhsa_tg_split 0
		.amdhsa_exception_fp_ieee_invalid_op 0
		.amdhsa_exception_fp_denorm_src 0
		.amdhsa_exception_fp_ieee_div_zero 0
		.amdhsa_exception_fp_ieee_overflow 0
		.amdhsa_exception_fp_ieee_underflow 0
		.amdhsa_exception_fp_ieee_inexact 0
		.amdhsa_exception_int_div_zero 0
	.end_amdhsa_kernel
	.text
.Lfunc_end0:
	.size	bluestein_single_fwd_len4050_dim1_dp_op_CI_CI, .Lfunc_end0-bluestein_single_fwd_len4050_dim1_dp_op_CI_CI
                                        ; -- End function
	.section	.AMDGPU.csdata,"",@progbits
; Kernel info:
; codeLenInByte = 46032
; NumSgprs: 42
; NumVgprs: 256
; NumAgprs: 256
; TotalNumVgprs: 512
; ScratchSize: 916
; MemoryBound: 0
; FloatMode: 240
; IeeeMode: 1
; LDSByteSize: 64800 bytes/workgroup (compile time only)
; SGPRBlocks: 5
; VGPRBlocks: 63
; NumSGPRsForWavesPerEU: 42
; NumVGPRsForWavesPerEU: 512
; AccumOffset: 256
; Occupancy: 1
; WaveLimiterHint : 1
; COMPUTE_PGM_RSRC2:SCRATCH_EN: 1
; COMPUTE_PGM_RSRC2:USER_SGPR: 2
; COMPUTE_PGM_RSRC2:TRAP_HANDLER: 0
; COMPUTE_PGM_RSRC2:TGID_X_EN: 1
; COMPUTE_PGM_RSRC2:TGID_Y_EN: 0
; COMPUTE_PGM_RSRC2:TGID_Z_EN: 0
; COMPUTE_PGM_RSRC2:TIDIG_COMP_CNT: 0
; COMPUTE_PGM_RSRC3_GFX90A:ACCUM_OFFSET: 63
; COMPUTE_PGM_RSRC3_GFX90A:TG_SPLIT: 0
	.text
	.p2alignl 6, 3212836864
	.fill 256, 4, 3212836864
	.type	__hip_cuid_93e09c1187f18c76,@object ; @__hip_cuid_93e09c1187f18c76
	.section	.bss,"aw",@nobits
	.globl	__hip_cuid_93e09c1187f18c76
__hip_cuid_93e09c1187f18c76:
	.byte	0                               ; 0x0
	.size	__hip_cuid_93e09c1187f18c76, 1

	.ident	"AMD clang version 19.0.0git (https://github.com/RadeonOpenCompute/llvm-project roc-6.4.0 25133 c7fe45cf4b819c5991fe208aaa96edf142730f1d)"
	.section	".note.GNU-stack","",@progbits
	.addrsig
	.addrsig_sym __hip_cuid_93e09c1187f18c76
	.amdgpu_metadata
---
amdhsa.kernels:
  - .agpr_count:     256
    .args:
      - .actual_access:  read_only
        .address_space:  global
        .offset:         0
        .size:           8
        .value_kind:     global_buffer
      - .actual_access:  read_only
        .address_space:  global
        .offset:         8
        .size:           8
        .value_kind:     global_buffer
      - .actual_access:  read_only
        .address_space:  global
        .offset:         16
        .size:           8
        .value_kind:     global_buffer
      - .actual_access:  read_only
        .address_space:  global
        .offset:         24
        .size:           8
        .value_kind:     global_buffer
      - .actual_access:  read_only
        .address_space:  global
        .offset:         32
        .size:           8
        .value_kind:     global_buffer
      - .offset:         40
        .size:           8
        .value_kind:     by_value
      - .address_space:  global
        .offset:         48
        .size:           8
        .value_kind:     global_buffer
      - .address_space:  global
        .offset:         56
        .size:           8
        .value_kind:     global_buffer
      - .address_space:  global
        .offset:         64
        .size:           8
        .value_kind:     global_buffer
      - .address_space:  global
        .offset:         72
        .size:           8
        .value_kind:     global_buffer
      - .offset:         80
        .size:           4
        .value_kind:     by_value
      - .address_space:  global
        .offset:         88
        .size:           8
        .value_kind:     global_buffer
      - .address_space:  global
        .offset:         96
        .size:           8
        .value_kind:     global_buffer
    .group_segment_fixed_size: 64800
    .kernarg_segment_align: 8
    .kernarg_segment_size: 104
    .language:       OpenCL C
    .language_version:
      - 2
      - 0
    .max_flat_workgroup_size: 135
    .name:           bluestein_single_fwd_len4050_dim1_dp_op_CI_CI
    .private_segment_fixed_size: 916
    .sgpr_count:     42
    .sgpr_spill_count: 0
    .symbol:         bluestein_single_fwd_len4050_dim1_dp_op_CI_CI.kd
    .uniform_work_group_size: 1
    .uses_dynamic_stack: false
    .vgpr_count:     512
    .vgpr_spill_count: 228
    .wavefront_size: 64
amdhsa.target:   amdgcn-amd-amdhsa--gfx950
amdhsa.version:
  - 1
  - 2
...

	.end_amdgpu_metadata
